;; amdgpu-corpus repo=ROCm/rocFFT kind=compiled arch=gfx950 opt=O3
	.text
	.amdgcn_target "amdgcn-amd-amdhsa--gfx950"
	.amdhsa_code_object_version 6
	.protected	bluestein_single_back_len2500_dim1_dp_op_CI_CI ; -- Begin function bluestein_single_back_len2500_dim1_dp_op_CI_CI
	.globl	bluestein_single_back_len2500_dim1_dp_op_CI_CI
	.p2align	8
	.type	bluestein_single_back_len2500_dim1_dp_op_CI_CI,@function
bluestein_single_back_len2500_dim1_dp_op_CI_CI: ; @bluestein_single_back_len2500_dim1_dp_op_CI_CI
; %bb.0:
	s_load_dwordx4 s[16:19], s[0:1], 0x28
	v_mul_u32_u24_e32 v1, 0x107, v0
	v_add_u32_sdwa v148, s2, v1 dst_sel:DWORD dst_unused:UNUSED_PAD src0_sel:DWORD src1_sel:WORD_1
	v_mov_b32_e32 v149, 0
	s_waitcnt lgkmcnt(0)
	v_cmp_gt_u64_e32 vcc, s[16:17], v[148:149]
	s_and_saveexec_b64 s[2:3], vcc
	s_cbranch_execz .LBB0_2
; %bb.1:
	s_load_dwordx4 s[12:15], s[0:1], 0x18
	s_load_dwordx4 s[8:11], s[0:1], 0x0
	v_mov_b32_e32 v2, s18
	v_mov_b32_e32 v3, s19
	s_movk_i32 s24, 0x1000
	s_waitcnt lgkmcnt(0)
	s_load_dwordx4 s[4:7], s[14:15], 0x0
	s_mov_b32 s18, 0x9b97f4a8
	s_load_dwordx4 s[12:15], s[12:13], 0x0
	s_mov_b32 s19, 0x3fe9e377
	s_mov_b32 s21, 0xbfd3c6ef
	s_waitcnt lgkmcnt(0)
	v_mad_u64_u32 v[150:151], s[2:3], s6, v148, 0
	v_mad_u64_u32 v[4:5], s[2:3], s14, v148, 0
	v_mov_b32_e32 v6, v151
	v_mad_u64_u32 v[154:155], s[2:3], s7, v148, v[6:7]
	v_mov_b32_e32 v6, v5
	v_mad_u64_u32 v[6:7], s[2:3], s15, v148, v[6:7]
	s_movk_i32 s2, 0xfa
	s_nop 0
	v_mul_lo_u16_sdwa v1, v1, s2 dst_sel:DWORD dst_unused:UNUSED_PAD src0_sel:WORD_1 src1_sel:DWORD
	v_sub_u16_e32 v152, v0, v1
	v_mad_u64_u32 v[0:1], s[2:3], s12, v152, 0
	v_mov_b32_e32 v5, v6
	v_mov_b32_e32 v6, v1
	v_mad_u64_u32 v[6:7], s[2:3], s13, v152, v[6:7]
	v_mov_b32_e32 v1, v6
	v_lshl_add_u64 v[2:3], v[4:5], 4, v[2:3]
	v_lshl_add_u64 v[0:1], v[0:1], 4, v[2:3]
	v_mov_b32_e32 v155, 0xfa0
	v_mad_u64_u32 v[8:9], s[2:3], s12, v155, v[0:1]
	v_lshlrev_b32_e32 v148, 4, v152
	s_mul_i32 s2, s13, 0xfa0
	v_lshl_add_u64 v[144:145], s[8:9], 0, v[148:149]
	v_add_u32_e32 v9, s2, v9
	global_load_dwordx4 v[40:43], v[0:1], off
	v_mad_u64_u32 v[10:11], s[6:7], s12, v155, v[8:9]
	v_add_co_u32_e32 v16, vcc, s24, v144
	global_load_dwordx4 v[4:7], v148, s[8:9]
	global_load_dwordx4 v[0:3], v148, s[8:9] offset:4000
	v_add_u32_e32 v11, s2, v11
	v_addc_co_u32_e32 v17, vcc, 0, v145, vcc
	s_movk_i32 s3, 0x2000
	v_mad_u64_u32 v[18:19], s[6:7], s12, v155, v[10:11]
	v_add_co_u32_e32 v20, vcc, s3, v144
	global_load_dwordx4 v[48:51], v[8:9], off
	global_load_dwordx4 v[44:47], v[10:11], off
	v_add_u32_e32 v19, s2, v19
	v_addc_co_u32_e32 v21, vcc, 0, v145, vcc
	s_movk_i32 s3, 0x3000
	global_load_dwordx4 v[12:15], v[16:17], off offset:3904
	global_load_dwordx4 v[8:11], v[20:21], off offset:3808
	v_mad_u64_u32 v[16:17], s[6:7], s12, v155, v[18:19]
	v_add_co_u32_e32 v24, vcc, s3, v144
	v_add_u32_e32 v17, s2, v17
	s_nop 0
	v_addc_co_u32_e32 v25, vcc, 0, v145, vcc
	s_movk_i32 s3, 0x4000
	v_mad_u64_u32 v[26:27], s[6:7], s12, v155, v[16:17]
	v_add_co_u32_e32 v28, vcc, s3, v144
	global_load_dwordx4 v[52:55], v[18:19], off
	global_load_dwordx4 v[56:59], v[16:17], off
	v_add_u32_e32 v27, s2, v27
	v_addc_co_u32_e32 v29, vcc, 0, v145, vcc
	s_movk_i32 s3, 0x5000
	global_load_dwordx4 v[60:63], v[26:27], off
	global_load_dwordx4 v[20:23], v[24:25], off offset:3712
	global_load_dwordx4 v[16:19], v[28:29], off offset:3616
	v_mad_u64_u32 v[24:25], s[6:7], s12, v155, v[26:27]
	v_add_co_u32_e32 v32, vcc, s3, v144
	v_add_u32_e32 v25, s2, v25
	s_nop 0
	v_addc_co_u32_e32 v33, vcc, 0, v145, vcc
	s_movk_i32 s3, 0x6000
	v_mad_u64_u32 v[34:35], s[6:7], s12, v155, v[24:25]
	v_add_co_u32_e32 v36, vcc, s3, v144
	v_add_u32_e32 v35, s2, v35
	s_nop 0
	v_addc_co_u32_e32 v37, vcc, 0, v145, vcc
	global_load_dwordx4 v[64:67], v[24:25], off
	global_load_dwordx4 v[68:71], v[34:35], off
	global_load_dwordx4 v[28:31], v[32:33], off offset:3520
	s_nop 0
	global_load_dwordx4 v[24:27], v[36:37], off offset:3424
	v_mad_u64_u32 v[36:37], s[6:7], s12, v155, v[34:35]
	v_add_u32_e32 v37, s2, v37
	s_movk_i32 s3, 0x7000
	global_load_dwordx4 v[72:75], v[36:37], off
	v_add_co_u32_e32 v32, vcc, s3, v144
	v_mad_u64_u32 v[36:37], s[6:7], s12, v155, v[36:37]
	s_nop 0
	v_addc_co_u32_e32 v33, vcc, 0, v145, vcc
	v_add_u32_e32 v37, s2, v37
	s_mov_b32 s2, 0x8000
	global_load_dwordx4 v[32:35], v[32:33], off offset:3328
	s_mov_b32 s8, 0x4755a5e
	global_load_dwordx4 v[76:79], v[36:37], off
	v_add_co_u32_e32 v36, vcc, s2, v144
	s_mov_b32 s2, 0x134454ff
	s_nop 0
	v_addc_co_u32_e32 v37, vcc, 0, v145, vcc
	global_load_dwordx4 v[36:39], v[36:37], off offset:3232
	s_mov_b32 s3, 0x3fee6f0e
	s_mov_b32 s15, 0xbfee6f0e
	;; [unrolled: 1-line block ×5, first 2 shown]
	s_waitcnt vmcnt(18)
	v_mul_f64 v[80:81], v[42:43], v[6:7]
	v_fmac_f64_e32 v[80:81], v[40:41], v[4:5]
	v_mul_f64 v[40:41], v[40:41], v[6:7]
	v_fma_f64 v[82:83], v[42:43], v[4:5], -v[40:41]
	ds_write_b128 v148, v[80:83]
	s_mov_b32 s13, 0xbfe2cf23
	s_mov_b32 s12, s8
	s_mov_b32 s7, 0x3fd3c6ef
	s_mov_b32 s20, s6
	s_waitcnt vmcnt(16)
	v_mul_f64 v[40:41], v[50:51], v[2:3]
	v_mul_f64 v[42:43], v[48:49], v[2:3]
	v_fmac_f64_e32 v[40:41], v[48:49], v[0:1]
	v_fma_f64 v[42:43], v[50:51], v[0:1], -v[42:43]
	ds_write_b128 v148, v[40:43] offset:4000
	s_waitcnt vmcnt(14)
	v_mul_f64 v[40:41], v[46:47], v[14:15]
	v_mul_f64 v[42:43], v[44:45], v[14:15]
	v_fmac_f64_e32 v[40:41], v[44:45], v[12:13]
	v_fma_f64 v[42:43], v[46:47], v[12:13], -v[42:43]
	ds_write_b128 v148, v[40:43] offset:8000
	s_mov_b32 s17, 0xbfe9e377
	s_mov_b32 s16, s18
	s_movk_i32 s22, 0xcd
	s_load_dwordx2 s[0:1], s[0:1], 0x38
	s_waitcnt vmcnt(12)
	v_mul_f64 v[40:41], v[54:55], v[10:11]
	v_mul_f64 v[42:43], v[52:53], v[10:11]
	v_fmac_f64_e32 v[40:41], v[52:53], v[8:9]
	v_fma_f64 v[42:43], v[54:55], v[8:9], -v[42:43]
	ds_write_b128 v148, v[40:43] offset:12000
	s_waitcnt vmcnt(9)
	v_mul_f64 v[40:41], v[58:59], v[22:23]
	v_mul_f64 v[42:43], v[56:57], v[22:23]
	v_fmac_f64_e32 v[40:41], v[56:57], v[20:21]
	v_fma_f64 v[42:43], v[58:59], v[20:21], -v[42:43]
	ds_write_b128 v148, v[40:43] offset:16000
	;; [unrolled: 6-line block ×7, first 2 shown]
	s_waitcnt lgkmcnt(0)
	s_barrier
	ds_read_b128 v[40:43], v148
	ds_read_b128 v[44:47], v148 offset:4000
	ds_read_b128 v[48:51], v148 offset:8000
	ds_read_b128 v[52:55], v148 offset:12000
	ds_read_b128 v[56:59], v148 offset:16000
	ds_read_b128 v[60:63], v148 offset:20000
	ds_read_b128 v[64:67], v148 offset:24000
	ds_read_b128 v[68:71], v148 offset:28000
	ds_read_b128 v[72:75], v148 offset:32000
	ds_read_b128 v[76:79], v148 offset:36000
	s_waitcnt lgkmcnt(5)
	v_add_f64 v[90:91], v[48:49], -v[56:57]
	s_waitcnt lgkmcnt(3)
	v_add_f64 v[82:83], v[56:57], v[64:65]
	v_fma_f64 v[82:83], -0.5, v[82:83], v[40:41]
	s_waitcnt lgkmcnt(1)
	v_add_f64 v[84:85], v[50:51], -v[74:75]
	v_fma_f64 v[86:87], s[2:3], v[84:85], v[82:83]
	v_add_f64 v[88:89], v[58:59], -v[66:67]
	v_add_f64 v[92:93], v[72:73], -v[64:65]
	v_fmac_f64_e32 v[82:83], s[14:15], v[84:85]
	v_fmac_f64_e32 v[86:87], s[8:9], v[88:89]
	v_add_f64 v[90:91], v[90:91], v[92:93]
	v_fmac_f64_e32 v[82:83], s[12:13], v[88:89]
	v_fmac_f64_e32 v[86:87], s[6:7], v[90:91]
	;; [unrolled: 1-line block ×3, first 2 shown]
	v_add_f64 v[90:91], v[48:49], v[72:73]
	v_add_f64 v[80:81], v[40:41], v[48:49]
	v_fmac_f64_e32 v[40:41], -0.5, v[90:91]
	v_add_f64 v[80:81], v[80:81], v[56:57]
	v_fma_f64 v[90:91], s[14:15], v[88:89], v[40:41]
	v_add_f64 v[92:93], v[56:57], -v[48:49]
	v_add_f64 v[94:95], v[64:65], -v[72:73]
	v_fmac_f64_e32 v[40:41], s[2:3], v[88:89]
	v_add_f64 v[88:89], v[58:59], v[66:67]
	v_add_f64 v[80:81], v[80:81], v[64:65]
	v_fmac_f64_e32 v[90:91], s[8:9], v[84:85]
	v_add_f64 v[92:93], v[92:93], v[94:95]
	v_fmac_f64_e32 v[40:41], s[12:13], v[84:85]
	v_fma_f64 v[88:89], -0.5, v[88:89], v[42:43]
	v_add_f64 v[48:49], v[48:49], -v[72:73]
	v_add_f64 v[80:81], v[80:81], v[72:73]
	v_fmac_f64_e32 v[90:91], s[6:7], v[92:93]
	v_fmac_f64_e32 v[40:41], s[6:7], v[92:93]
	v_fma_f64 v[92:93], s[14:15], v[48:49], v[88:89]
	v_add_f64 v[56:57], v[56:57], -v[64:65]
	v_add_f64 v[64:65], v[50:51], -v[58:59]
	;; [unrolled: 1-line block ×3, first 2 shown]
	v_fmac_f64_e32 v[88:89], s[2:3], v[48:49]
	v_fmac_f64_e32 v[92:93], s[12:13], v[56:57]
	v_add_f64 v[64:65], v[64:65], v[72:73]
	v_fmac_f64_e32 v[88:89], s[8:9], v[56:57]
	v_fmac_f64_e32 v[92:93], s[6:7], v[64:65]
	;; [unrolled: 1-line block ×3, first 2 shown]
	v_add_f64 v[64:65], v[50:51], v[74:75]
	v_add_f64 v[84:85], v[42:43], v[50:51]
	v_fmac_f64_e32 v[42:43], -0.5, v[64:65]
	v_fma_f64 v[94:95], s[2:3], v[56:57], v[42:43]
	v_fmac_f64_e32 v[42:43], s[14:15], v[56:57]
	v_fmac_f64_e32 v[94:95], s[12:13], v[48:49]
	;; [unrolled: 1-line block ×3, first 2 shown]
	v_add_f64 v[48:49], v[44:45], v[52:53]
	v_add_f64 v[48:49], v[48:49], v[60:61]
	;; [unrolled: 1-line block ×4, first 2 shown]
	v_add_f64 v[50:51], v[58:59], -v[50:51]
	v_add_f64 v[58:59], v[66:67], -v[74:75]
	s_waitcnt lgkmcnt(0)
	v_add_f64 v[72:73], v[48:49], v[76:77]
	v_add_f64 v[48:49], v[60:61], v[68:69]
	;; [unrolled: 1-line block ×4, first 2 shown]
	v_fma_f64 v[66:67], -0.5, v[48:49], v[44:45]
	v_add_f64 v[48:49], v[54:55], -v[78:79]
	v_fmac_f64_e32 v[94:95], s[6:7], v[50:51]
	v_fmac_f64_e32 v[42:43], s[6:7], v[50:51]
	v_fma_f64 v[58:59], s[2:3], v[48:49], v[66:67]
	v_add_f64 v[50:51], v[62:63], -v[70:71]
	v_add_f64 v[56:57], v[52:53], -v[60:61]
	;; [unrolled: 1-line block ×3, first 2 shown]
	v_fmac_f64_e32 v[66:67], s[14:15], v[48:49]
	v_fmac_f64_e32 v[58:59], s[8:9], v[50:51]
	v_add_f64 v[56:57], v[56:57], v[64:65]
	v_fmac_f64_e32 v[66:67], s[12:13], v[50:51]
	v_fmac_f64_e32 v[58:59], s[6:7], v[56:57]
	;; [unrolled: 1-line block ×3, first 2 shown]
	v_add_f64 v[56:57], v[52:53], v[76:77]
	v_fmac_f64_e32 v[44:45], -0.5, v[56:57]
	v_add_f64 v[84:85], v[84:85], v[74:75]
	v_fma_f64 v[74:75], s[14:15], v[50:51], v[44:45]
	v_fmac_f64_e32 v[44:45], s[2:3], v[50:51]
	v_fmac_f64_e32 v[74:75], s[8:9], v[48:49]
	;; [unrolled: 1-line block ×3, first 2 shown]
	v_add_f64 v[48:49], v[46:47], v[54:55]
	v_add_f64 v[48:49], v[48:49], v[62:63]
	;; [unrolled: 1-line block ×3, first 2 shown]
	v_add_f64 v[56:57], v[60:61], -v[52:53]
	v_add_f64 v[64:65], v[68:69], -v[76:77]
	v_add_f64 v[96:97], v[48:49], v[78:79]
	v_add_f64 v[48:49], v[62:63], v[70:71]
	;; [unrolled: 1-line block ×3, first 2 shown]
	v_fma_f64 v[98:99], -0.5, v[48:49], v[46:47]
	v_add_f64 v[48:49], v[52:53], -v[76:77]
	v_fmac_f64_e32 v[74:75], s[6:7], v[56:57]
	v_fmac_f64_e32 v[44:45], s[6:7], v[56:57]
	v_fma_f64 v[76:77], s[14:15], v[48:49], v[98:99]
	v_add_f64 v[50:51], v[60:61], -v[68:69]
	v_add_f64 v[52:53], v[54:55], -v[62:63]
	;; [unrolled: 1-line block ×3, first 2 shown]
	v_fmac_f64_e32 v[98:99], s[2:3], v[48:49]
	v_fmac_f64_e32 v[76:77], s[12:13], v[50:51]
	v_add_f64 v[52:53], v[52:53], v[56:57]
	v_fmac_f64_e32 v[98:99], s[8:9], v[50:51]
	v_fmac_f64_e32 v[76:77], s[6:7], v[52:53]
	;; [unrolled: 1-line block ×3, first 2 shown]
	v_add_f64 v[52:53], v[54:55], v[78:79]
	v_fmac_f64_e32 v[46:47], -0.5, v[52:53]
	v_fma_f64 v[68:69], s[2:3], v[50:51], v[46:47]
	v_add_f64 v[52:53], v[62:63], -v[54:55]
	v_add_f64 v[54:55], v[70:71], -v[78:79]
	v_fmac_f64_e32 v[46:47], s[14:15], v[50:51]
	v_fmac_f64_e32 v[68:69], s[12:13], v[48:49]
	v_add_f64 v[52:53], v[52:53], v[54:55]
	v_fmac_f64_e32 v[46:47], s[8:9], v[48:49]
	v_fmac_f64_e32 v[68:69], s[6:7], v[52:53]
	;; [unrolled: 1-line block ×3, first 2 shown]
	v_mul_f64 v[78:79], v[68:69], s[2:3]
	v_mul_f64 v[100:101], v[44:45], s[20:21]
	;; [unrolled: 1-line block ×4, first 2 shown]
	v_add_f64 v[48:49], v[80:81], v[72:73]
	v_mul_f64 v[70:71], v[58:59], s[18:19]
	v_fmac_f64_e32 v[78:79], s[6:7], v[74:75]
	v_fmac_f64_e32 v[100:101], s[2:3], v[46:47]
	;; [unrolled: 1-line block ×3, first 2 shown]
	v_mul_f64 v[104:105], v[58:59], s[12:13]
	v_mul_f64 v[74:75], v[74:75], s[14:15]
	v_fmac_f64_e32 v[106:107], s[14:15], v[44:45]
	v_mul_f64 v[98:99], v[98:99], s[16:17]
	v_add_f64 v[44:45], v[80:81], -v[72:73]
	v_mul_lo_u16_e32 v80, 10, v152
	v_fmac_f64_e32 v[70:71], s[8:9], v[76:77]
	v_add_f64 v[60:61], v[40:41], v[100:101]
	v_add_f64 v[50:51], v[84:85], v[96:97]
	v_fmac_f64_e32 v[104:105], s[18:19], v[76:77]
	v_fmac_f64_e32 v[74:75], s[6:7], v[68:69]
	;; [unrolled: 1-line block ×3, first 2 shown]
	v_add_f64 v[40:41], v[40:41], -v[100:101]
	v_lshlrev_b32_e32 v151, 4, v80
	v_add_f64 v[52:53], v[86:87], v[70:71]
	v_add_f64 v[56:57], v[90:91], v[78:79]
	;; [unrolled: 1-line block ×7, first 2 shown]
	v_add_f64 v[68:69], v[86:87], -v[70:71]
	v_add_f64 v[72:73], v[90:91], -v[78:79]
	;; [unrolled: 1-line block ×8, first 2 shown]
	s_barrier
	ds_write_b128 v151, v[48:51]
	ds_write_b128 v151, v[52:55] offset:16
	ds_write_b128 v151, v[56:59] offset:32
	;; [unrolled: 1-line block ×9, first 2 shown]
	v_mul_lo_u16_sdwa v40, v152, s22 dst_sel:DWORD dst_unused:UNUSED_PAD src0_sel:BYTE_0 src1_sel:DWORD
	v_lshrrev_b16_e32 v120, 11, v40
	v_mul_lo_u16_e32 v40, 10, v120
	v_sub_u16_e32 v40, v152, v40
	s_mov_b32 s22, 0
	v_and_b32_e32 v121, 0xff, v40
	v_mov_b32_e32 v153, s22
	s_mov_b64 s[22:23], 0xfa
	v_lshlrev_b32_e32 v56, 6, v121
	v_lshl_add_u64 v[124:125], v[152:153], 0, s[22:23]
	s_mov_b32 s22, 0xcccd
	s_waitcnt lgkmcnt(0)
	s_barrier
	global_load_dwordx4 v[52:55], v56, s[10:11]
	global_load_dwordx4 v[48:51], v56, s[10:11] offset:16
	global_load_dwordx4 v[40:43], v56, s[10:11] offset:48
	;; [unrolled: 1-line block ×3, first 2 shown]
	v_mul_u32_u24_sdwa v56, v124, s22 dst_sel:DWORD dst_unused:UNUSED_PAD src0_sel:WORD_0 src1_sel:DWORD
	v_lshrrev_b32_e32 v125, 19, v56
	v_mul_lo_u16_e32 v56, 10, v125
	v_sub_u16_e32 v134, v124, v56
	v_lshlrev_b16_e32 v56, 2, v134
	v_lshlrev_b32_e32 v72, 4, v56
	global_load_dwordx4 v[64:67], v72, s[10:11]
	global_load_dwordx4 v[60:63], v72, s[10:11] offset:16
	global_load_dwordx4 v[56:59], v72, s[10:11] offset:32
	;; [unrolled: 1-line block ×3, first 2 shown]
	ds_read_b128 v[76:79], v148 offset:8000
	ds_read_b128 v[72:75], v148 offset:4000
	;; [unrolled: 1-line block ×8, first 2 shown]
	s_movk_i32 s22, 0x90
	v_lshlrev_b32_e32 v124, 6, v124
	s_waitcnt vmcnt(7) lgkmcnt(7)
	v_mul_f64 v[96:97], v[78:79], v[54:55]
	v_fma_f64 v[104:105], v[76:77], v[52:53], -v[96:97]
	v_mul_f64 v[96:97], v[76:77], v[54:55]
	s_waitcnt vmcnt(6) lgkmcnt(5)
	v_mul_f64 v[76:77], v[82:83], v[50:51]
	v_fma_f64 v[106:107], v[80:81], v[48:49], -v[76:77]
	s_waitcnt vmcnt(4) lgkmcnt(3)
	v_mul_f64 v[76:77], v[86:87], v[46:47]
	v_fma_f64 v[108:109], v[84:85], v[44:45], -v[76:77]
	s_waitcnt lgkmcnt(1)
	v_mul_f64 v[76:77], v[114:115], v[42:43]
	v_mul_f64 v[100:101], v[84:85], v[46:47]
	v_fma_f64 v[110:111], v[112:113], v[40:41], -v[76:77]
	v_mul_f64 v[102:103], v[112:113], v[42:43]
	s_waitcnt vmcnt(3)
	v_mul_f64 v[76:77], v[90:91], v[66:67]
	v_fmac_f64_e32 v[100:101], v[86:87], v[44:45]
	v_fmac_f64_e32 v[102:103], v[114:115], v[40:41]
	v_fma_f64 v[86:87], v[88:89], v[64:65], -v[76:77]
	s_waitcnt vmcnt(2)
	v_mul_f64 v[76:77], v[94:95], v[62:63]
	ds_read_b128 v[112:115], v148 offset:36000
	v_mul_f64 v[98:99], v[80:81], v[50:51]
	v_mul_f64 v[80:81], v[88:89], v[66:67]
	v_fma_f64 v[88:89], v[92:93], v[60:61], -v[76:77]
	s_waitcnt vmcnt(1) lgkmcnt(1)
	v_mul_f64 v[76:77], v[118:119], v[58:59]
	v_fmac_f64_e32 v[96:97], v[78:79], v[52:53]
	v_fmac_f64_e32 v[98:99], v[82:83], v[48:49]
	v_mul_f64 v[82:83], v[92:93], v[62:63]
	v_fma_f64 v[92:93], v[116:117], v[56:57], -v[76:77]
	ds_read_b128 v[76:79], v148
	v_fmac_f64_e32 v[80:81], v[90:91], v[64:65]
	s_waitcnt vmcnt(0) lgkmcnt(1)
	v_mul_f64 v[90:91], v[114:115], v[70:71]
	v_fmac_f64_e32 v[82:83], v[94:95], v[60:61]
	v_fma_f64 v[94:95], v[112:113], v[68:69], -v[90:91]
	v_mul_f64 v[90:91], v[112:113], v[70:71]
	v_fmac_f64_e32 v[90:91], v[114:115], v[68:69]
	s_waitcnt lgkmcnt(0)
	v_add_f64 v[112:113], v[76:77], v[104:105]
	v_add_f64 v[114:115], v[78:79], v[96:97]
	;; [unrolled: 1-line block ×4, first 2 shown]
	v_mul_f64 v[84:85], v[116:117], v[58:59]
	v_add_f64 v[112:113], v[112:113], v[108:109]
	v_add_f64 v[114:115], v[114:115], v[100:101]
	v_mul_u32_u24_e32 v116, 50, v120
	v_add_f64 v[112:113], v[112:113], v[110:111]
	v_add_f64 v[114:115], v[114:115], v[102:103]
	v_add_lshl_u32 v153, v116, v121, 4
	s_barrier
	ds_write_b128 v153, v[112:115]
	v_add_f64 v[112:113], v[104:105], -v[106:107]
	v_add_f64 v[114:115], v[110:111], -v[108:109]
	v_add_f64 v[120:121], v[112:113], v[114:115]
	v_add_f64 v[112:113], v[106:107], v[108:109]
	;; [unrolled: 1-line block ×3, first 2 shown]
	v_fmac_f64_e32 v[84:85], v[118:119], v[56:57]
	v_fma_f64 v[112:113], -0.5, v[112:113], v[76:77]
	v_fma_f64 v[114:115], -0.5, v[114:115], v[78:79]
	v_add_f64 v[116:117], v[96:97], -v[98:99]
	v_add_f64 v[118:119], v[102:103], -v[100:101]
	v_add_f64 v[126:127], v[96:97], -v[102:103]
	v_add_f64 v[130:131], v[104:105], -v[110:111]
	v_add_f64 v[122:123], v[116:117], v[118:119]
	v_add_f64 v[128:129], v[98:99], -v[100:101]
	v_fma_f64 v[116:117], s[2:3], v[126:127], v[112:113]
	v_fma_f64 v[118:119], s[14:15], v[130:131], v[114:115]
	v_add_f64 v[132:133], v[106:107], -v[108:109]
	v_fmac_f64_e32 v[116:117], s[8:9], v[128:129]
	v_fmac_f64_e32 v[118:119], s[12:13], v[132:133]
	;; [unrolled: 1-line block ×4, first 2 shown]
	ds_write_b128 v153, v[116:119] offset:160
	v_add_f64 v[116:117], v[104:105], v[110:111]
	v_fmac_f64_e32 v[76:77], -0.5, v[116:117]
	v_add_f64 v[104:105], v[106:107], -v[104:105]
	v_add_f64 v[106:107], v[108:109], -v[110:111]
	v_add_f64 v[106:107], v[104:105], v[106:107]
	v_fma_f64 v[104:105], s[14:15], v[128:129], v[76:77]
	v_fmac_f64_e32 v[76:77], s[2:3], v[128:129]
	v_fmac_f64_e32 v[104:105], s[8:9], v[126:127]
	;; [unrolled: 1-line block ×5, first 2 shown]
	v_add_f64 v[106:107], v[96:97], v[102:103]
	v_fmac_f64_e32 v[78:79], -0.5, v[106:107]
	v_add_f64 v[96:97], v[98:99], -v[96:97]
	v_add_f64 v[98:99], v[100:101], -v[102:103]
	v_fma_f64 v[106:107], s[2:3], v[132:133], v[78:79]
	v_fmac_f64_e32 v[78:79], s[14:15], v[132:133]
	v_add_f64 v[96:97], v[96:97], v[98:99]
	v_fmac_f64_e32 v[106:107], s[12:13], v[130:131]
	v_fmac_f64_e32 v[78:79], s[8:9], v[130:131]
	;; [unrolled: 1-line block ×4, first 2 shown]
	v_add_f64 v[96:97], v[86:87], -v[88:89]
	v_add_f64 v[98:99], v[94:95], -v[92:93]
	v_add_f64 v[98:99], v[96:97], v[98:99]
	v_add_f64 v[96:97], v[88:89], v[92:93]
	v_fma_f64 v[96:97], -0.5, v[96:97], v[72:73]
	v_add_f64 v[102:103], v[80:81], -v[90:91]
	v_add_f64 v[110:111], v[82:83], -v[84:85]
	v_fma_f64 v[100:101], s[2:3], v[102:103], v[96:97]
	v_fmac_f64_e32 v[96:97], s[14:15], v[102:103]
	v_fmac_f64_e32 v[100:101], s[8:9], v[110:111]
	;; [unrolled: 1-line block ×3, first 2 shown]
	v_add_f64 v[108:109], v[86:87], v[94:95]
	v_fmac_f64_e32 v[100:101], s[6:7], v[98:99]
	v_fmac_f64_e32 v[96:97], s[6:7], v[98:99]
	v_add_f64 v[98:99], v[72:73], v[86:87]
	v_fmac_f64_e32 v[72:73], -0.5, v[108:109]
	v_add_f64 v[108:109], v[88:89], -v[86:87]
	v_add_f64 v[116:117], v[92:93], -v[94:95]
	v_add_f64 v[116:117], v[108:109], v[116:117]
	v_fma_f64 v[108:109], s[14:15], v[110:111], v[72:73]
	v_fmac_f64_e32 v[72:73], s[2:3], v[110:111]
	v_add_f64 v[98:99], v[98:99], v[88:89]
	v_fmac_f64_e32 v[108:109], s[8:9], v[102:103]
	v_fmac_f64_e32 v[72:73], s[12:13], v[102:103]
	v_add_f64 v[98:99], v[98:99], v[92:93]
	v_add_f64 v[102:103], v[74:75], v[80:81]
	v_fmac_f64_e32 v[108:109], s[6:7], v[116:117]
	v_fmac_f64_e32 v[72:73], s[6:7], v[116:117]
	v_add_f64 v[102:103], v[102:103], v[82:83]
	v_add_f64 v[116:117], v[98:99], v[94:95]
	;; [unrolled: 1-line block ×4, first 2 shown]
	v_fma_f64 v[98:99], -0.5, v[98:99], v[74:75]
	v_add_f64 v[86:87], v[86:87], -v[94:95]
	v_add_f64 v[118:119], v[102:103], v[90:91]
	v_add_f64 v[88:89], v[88:89], -v[92:93]
	v_add_f64 v[92:93], v[80:81], -v[82:83]
	;; [unrolled: 1-line block ×3, first 2 shown]
	v_fma_f64 v[102:103], s[14:15], v[86:87], v[98:99]
	v_fmac_f64_e32 v[98:99], s[2:3], v[86:87]
	v_add_f64 v[92:93], v[92:93], v[94:95]
	v_fmac_f64_e32 v[102:103], s[12:13], v[88:89]
	v_fmac_f64_e32 v[98:99], s[8:9], v[88:89]
	;; [unrolled: 1-line block ×6, first 2 shown]
	v_add_f64 v[92:93], v[80:81], v[90:91]
	v_fmac_f64_e32 v[112:113], s[12:13], v[128:129]
	v_fmac_f64_e32 v[114:115], s[8:9], v[132:133]
	v_fmac_f64_e32 v[74:75], -0.5, v[92:93]
	v_fmac_f64_e32 v[112:113], s[6:7], v[120:121]
	v_fmac_f64_e32 v[114:115], s[6:7], v[122:123]
	v_add_f64 v[80:81], v[82:83], -v[80:81]
	v_add_f64 v[82:83], v[84:85], -v[90:91]
	v_fma_f64 v[110:111], s[2:3], v[88:89], v[74:75]
	v_fmac_f64_e32 v[74:75], s[14:15], v[88:89]
	ds_write_b128 v153, v[104:107] offset:320
	ds_write_b128 v153, v[76:79] offset:480
	;; [unrolled: 1-line block ×3, first 2 shown]
	v_mad_legacy_u16 v76, v125, 50, v134
	v_add_f64 v[80:81], v[80:81], v[82:83]
	v_fmac_f64_e32 v[110:111], s[12:13], v[86:87]
	v_fmac_f64_e32 v[74:75], s[8:9], v[86:87]
	v_lshlrev_b32_e32 v166, 4, v76
	v_fmac_f64_e32 v[110:111], s[6:7], v[80:81]
	v_fmac_f64_e32 v[74:75], s[6:7], v[80:81]
	ds_write_b128 v166, v[116:119]
	ds_write_b128 v166, v[100:103] offset:160
	ds_write_b128 v166, v[108:111] offset:320
	;; [unrolled: 1-line block ×4, first 2 shown]
	v_mov_b32_e32 v72, 41
	v_mul_lo_u16_sdwa v72, v152, v72 dst_sel:DWORD dst_unused:UNUSED_PAD src0_sel:BYTE_0 src1_sel:DWORD
	v_lshrrev_b16_e32 v125, 11, v72
	v_mul_lo_u16_e32 v72, 50, v125
	v_sub_u16_e32 v72, v152, v72
	v_and_b32_e32 v167, 0xff, v72
	v_mov_b64_e32 v[72:73], s[10:11]
	v_mad_u64_u32 v[108:109], s[22:23], v167, s22, v[72:73]
	s_waitcnt lgkmcnt(0)
	s_barrier
	global_load_dwordx4 v[80:83], v[108:109], off offset:640
	global_load_dwordx4 v[76:79], v[108:109], off offset:656
	;; [unrolled: 1-line block ×9, first 2 shown]
	ds_read_b128 v[108:111], v148 offset:4000
	ds_read_b128 v[112:115], v148 offset:8000
	;; [unrolled: 1-line block ×6, first 2 shown]
	s_mov_b64 s[22:23], 0x1ea0
	s_waitcnt vmcnt(8) lgkmcnt(5)
	v_mul_f64 v[116:117], v[110:111], v[82:83]
	v_fma_f64 v[162:163], v[108:109], v[80:81], -v[116:117]
	v_mul_f64 v[164:165], v[108:109], v[82:83]
	s_waitcnt vmcnt(7) lgkmcnt(4)
	v_mul_f64 v[108:109], v[114:115], v[78:79]
	v_fma_f64 v[120:121], v[112:113], v[76:77], -v[108:109]
	s_waitcnt vmcnt(6) lgkmcnt(3)
	v_mul_f64 v[108:109], v[128:129], v[74:75]
	v_fmac_f64_e32 v[164:165], v[110:111], v[80:81]
	v_fma_f64 v[118:119], v[126:127], v[72:73], -v[108:109]
	ds_read_b128 v[108:111], v148 offset:20000
	v_mul_f64 v[116:117], v[112:113], v[78:79]
	v_fmac_f64_e32 v[116:117], v[114:115], v[76:77]
	v_mul_f64 v[114:115], v[126:127], v[74:75]
	s_waitcnt vmcnt(5) lgkmcnt(3)
	v_mul_f64 v[112:113], v[134:135], v[86:87]
	v_mul_f64 v[126:127], v[132:133], v[86:87]
	v_fma_f64 v[130:131], v[132:133], v[84:85], -v[112:113]
	v_fmac_f64_e32 v[126:127], v[134:135], v[84:85]
	ds_read_b128 v[134:137], v148 offset:24000
	s_waitcnt vmcnt(4) lgkmcnt(1)
	v_mul_f64 v[112:113], v[110:111], v[90:91]
	v_mul_f64 v[122:123], v[108:109], v[90:91]
	v_fmac_f64_e32 v[114:115], v[128:129], v[72:73]
	v_fma_f64 v[128:129], v[108:109], v[88:89], -v[112:113]
	v_fmac_f64_e32 v[122:123], v[110:111], v[88:89]
	ds_read_b128 v[108:111], v148 offset:28000
	s_waitcnt vmcnt(3) lgkmcnt(1)
	v_mul_f64 v[112:113], v[136:137], v[102:103]
	v_fma_f64 v[138:139], v[134:135], v[100:101], -v[112:113]
	v_mul_f64 v[134:135], v[134:135], v[102:103]
	v_fmac_f64_e32 v[134:135], v[136:137], v[100:101]
	s_waitcnt vmcnt(2) lgkmcnt(0)
	v_mul_f64 v[112:113], v[110:111], v[98:99]
	v_fma_f64 v[136:137], v[108:109], v[96:97], -v[112:113]
	v_mul_f64 v[132:133], v[108:109], v[98:99]
	s_waitcnt vmcnt(1)
	v_mul_f64 v[108:109], v[142:143], v[94:95]
	v_fmac_f64_e32 v[132:133], v[110:111], v[96:97]
	v_fma_f64 v[146:147], v[140:141], v[92:93], -v[108:109]
	ds_read_b128 v[108:111], v148
	v_mul_f64 v[140:141], v[140:141], v[94:95]
	s_waitcnt vmcnt(0)
	v_mul_f64 v[112:113], v[170:171], v[106:107]
	v_fmac_f64_e32 v[140:141], v[142:143], v[92:93]
	v_fma_f64 v[158:159], v[168:169], v[104:105], -v[112:113]
	v_add_f64 v[112:113], v[130:131], v[138:139]
	v_add_f64 v[142:143], v[120:121], v[146:147]
	v_mul_f64 v[156:157], v[168:169], v[106:107]
	s_waitcnt lgkmcnt(0)
	v_fma_f64 v[112:113], -0.5, v[112:113], v[108:109]
	v_add_f64 v[168:169], v[108:109], v[120:121]
	v_fmac_f64_e32 v[108:109], -0.5, v[142:143]
	v_add_f64 v[142:143], v[130:131], -v[120:121]
	v_add_f64 v[160:161], v[138:139], -v[146:147]
	v_add_f64 v[160:161], v[142:143], v[160:161]
	v_add_f64 v[142:143], v[126:127], v[134:135]
	;; [unrolled: 1-line block ×3, first 2 shown]
	v_fmac_f64_e32 v[156:157], v[170:171], v[104:105]
	v_fma_f64 v[142:143], -0.5, v[142:143], v[110:111]
	v_add_f64 v[170:171], v[110:111], v[116:117]
	v_fmac_f64_e32 v[110:111], -0.5, v[172:173]
	v_add_f64 v[172:173], v[126:127], -v[116:117]
	v_add_f64 v[174:175], v[134:135], -v[140:141]
	v_add_f64 v[176:177], v[172:173], v[174:175]
	v_add_f64 v[172:173], v[128:129], v[136:137]
	;; [unrolled: 1-line block ×3, first 2 shown]
	v_fma_f64 v[178:179], -0.5, v[172:173], v[162:163]
	v_add_f64 v[172:173], v[162:163], v[118:119]
	v_fmac_f64_e32 v[162:163], -0.5, v[174:175]
	v_add_f64 v[174:175], v[128:129], -v[118:119]
	v_add_f64 v[180:181], v[136:137], -v[158:159]
	v_add_f64 v[180:181], v[174:175], v[180:181]
	v_add_f64 v[174:175], v[122:123], v[132:133]
	;; [unrolled: 1-line block ×3, first 2 shown]
	v_fma_f64 v[182:183], -0.5, v[174:175], v[164:165]
	v_add_f64 v[174:175], v[164:165], v[114:115]
	v_fmac_f64_e32 v[164:165], -0.5, v[184:185]
	v_add_f64 v[184:185], v[122:123], -v[114:115]
	v_add_f64 v[186:187], v[132:133], -v[156:157]
	v_add_f64 v[184:185], v[184:185], v[186:187]
	v_add_f64 v[186:187], v[122:123], -v[132:133]
	v_fma_f64 v[188:189], s[14:15], v[186:187], v[162:163]
	v_fmac_f64_e32 v[162:163], s[2:3], v[186:187]
	v_add_f64 v[190:191], v[114:115], -v[156:157]
	v_add_f64 v[192:193], v[128:129], -v[136:137]
	v_fmac_f64_e32 v[162:163], s[12:13], v[190:191]
	v_fma_f64 v[194:195], s[2:3], v[192:193], v[164:165]
	v_fmac_f64_e32 v[164:165], s[14:15], v[192:193]
	v_add_f64 v[196:197], v[118:119], -v[158:159]
	v_add_f64 v[202:203], v[126:127], -v[134:135]
	v_fmac_f64_e32 v[162:163], s[6:7], v[180:181]
	v_fmac_f64_e32 v[164:165], s[8:9], v[196:197]
	v_fma_f64 v[204:205], s[14:15], v[202:203], v[108:109]
	v_fmac_f64_e32 v[108:109], s[2:3], v[202:203]
	v_add_f64 v[206:207], v[116:117], -v[140:141]
	v_fmac_f64_e32 v[164:165], s[6:7], v[184:185]
	v_mul_f64 v[198:199], v[162:163], s[20:21]
	v_fmac_f64_e32 v[108:109], s[12:13], v[206:207]
	v_add_f64 v[208:209], v[130:131], -v[138:139]
	v_add_f64 v[168:169], v[168:169], v[130:131]
	v_fmac_f64_e32 v[198:199], s[2:3], v[164:165]
	v_mul_f64 v[200:201], v[164:165], s[20:21]
	v_fmac_f64_e32 v[108:109], s[6:7], v[160:161]
	v_fma_f64 v[210:211], s[2:3], v[208:209], v[110:111]
	v_fmac_f64_e32 v[110:111], s[14:15], v[208:209]
	v_add_f64 v[212:213], v[120:121], -v[146:147]
	v_add_f64 v[168:169], v[168:169], v[138:139]
	v_fmac_f64_e32 v[200:201], s[14:15], v[162:163]
	v_fmac_f64_e32 v[110:111], s[8:9], v[212:213]
	v_add_f64 v[162:163], v[108:109], v[198:199]
	v_add_f64 v[108:109], v[108:109], -v[198:199]
	v_add_f64 v[198:199], v[168:169], v[146:147]
	v_add_f64 v[168:169], v[170:171], v[126:127]
	v_add_f64 v[120:121], v[120:121], -v[130:131]
	v_add_f64 v[130:131], v[146:147], -v[138:139]
	v_fmac_f64_e32 v[110:111], s[6:7], v[176:177]
	v_add_f64 v[168:169], v[168:169], v[134:135]
	v_add_f64 v[138:139], v[120:121], v[130:131]
	v_add_f64 v[116:117], v[116:117], -v[126:127]
	v_add_f64 v[120:121], v[140:141], -v[134:135]
	v_add_f64 v[164:165], v[110:111], v[200:201]
	v_add_f64 v[110:111], v[110:111], -v[200:201]
	v_add_f64 v[200:201], v[168:169], v[140:141]
	v_add_f64 v[168:169], v[172:173], v[128:129]
	;; [unrolled: 1-line block ×3, first 2 shown]
	v_add_f64 v[116:117], v[118:119], -v[128:129]
	v_add_f64 v[118:119], v[158:159], -v[136:137]
	v_add_f64 v[168:169], v[168:169], v[136:137]
	v_add_f64 v[136:137], v[116:117], v[118:119]
	v_add_f64 v[114:115], v[114:115], -v[122:123]
	v_add_f64 v[116:117], v[156:157], -v[132:133]
	v_add_f64 v[172:173], v[168:169], v[158:159]
	v_add_f64 v[168:169], v[174:175], v[122:123]
	;; [unrolled: 1-line block ×3, first 2 shown]
	v_fma_f64 v[114:115], s[2:3], v[190:191], v[178:179]
	v_fmac_f64_e32 v[178:179], s[14:15], v[190:191]
	v_fma_f64 v[116:117], s[14:15], v[196:197], v[182:183]
	v_fmac_f64_e32 v[178:179], s[12:13], v[186:187]
	v_fmac_f64_e32 v[182:183], s[2:3], v[196:197]
	;; [unrolled: 1-line block ×3, first 2 shown]
	v_fma_f64 v[126:127], s[2:3], v[206:207], v[112:113]
	v_fmac_f64_e32 v[112:113], s[14:15], v[206:207]
	v_fmac_f64_e32 v[178:179], s[6:7], v[136:137]
	;; [unrolled: 1-line block ×5, first 2 shown]
	v_fma_f64 v[128:129], s[14:15], v[212:213], v[142:143]
	v_fmac_f64_e32 v[188:189], s[8:9], v[190:191]
	v_fmac_f64_e32 v[194:195], s[12:13], v[196:197]
	v_fmac_f64_e32 v[112:113], s[12:13], v[202:203]
	v_fmac_f64_e32 v[142:143], s[2:3], v[212:213]
	v_fmac_f64_e32 v[182:183], s[6:7], v[122:123]
	v_mul_f64 v[122:123], v[178:179], s[16:17]
	v_add_f64 v[168:169], v[168:169], v[132:133]
	v_fmac_f64_e32 v[114:115], s[6:7], v[136:137]
	v_fmac_f64_e32 v[126:127], s[8:9], v[202:203]
	;; [unrolled: 1-line block ×8, first 2 shown]
	v_add_f64 v[174:175], v[168:169], v[156:157]
	v_mul_f64 v[118:119], v[116:117], s[8:9]
	v_mul_f64 v[120:121], v[114:115], s[12:13]
	v_fmac_f64_e32 v[126:127], s[6:7], v[138:139]
	v_fmac_f64_e32 v[128:129], s[6:7], v[134:135]
	;; [unrolled: 1-line block ×4, first 2 shown]
	v_mul_f64 v[130:131], v[194:195], s[2:3]
	v_mul_f64 v[132:133], v[188:189], s[14:15]
	v_fmac_f64_e32 v[142:143], s[6:7], v[134:135]
	v_mul_f64 v[140:141], v[182:183], s[16:17]
	v_add_f64 v[134:135], v[112:113], v[122:123]
	v_add_f64 v[138:139], v[112:113], -v[122:123]
	v_mul_u32_u24_e32 v112, 0x1f4, v125
	v_add_f64 v[168:169], v[198:199], v[172:173]
	v_add_f64 v[170:171], v[200:201], v[174:175]
	v_fmac_f64_e32 v[118:119], s[18:19], v[114:115]
	v_fmac_f64_e32 v[120:121], s[18:19], v[116:117]
	;; [unrolled: 1-line block ×7, first 2 shown]
	v_add_lshl_u32 v156, v112, v167, 4
	v_add_f64 v[172:173], v[198:199], -v[172:173]
	v_add_f64 v[174:175], v[200:201], -v[174:175]
	v_add_f64 v[114:115], v[126:127], v[118:119]
	v_add_f64 v[116:117], v[128:129], v[120:121]
	v_add_f64 v[118:119], v[126:127], -v[118:119]
	v_add_f64 v[120:121], v[128:129], -v[120:121]
	v_add_f64 v[126:127], v[204:205], v[130:131]
	v_add_f64 v[128:129], v[210:211], v[132:133]
	v_add_f64 v[130:131], v[204:205], -v[130:131]
	v_add_f64 v[132:133], v[210:211], -v[132:133]
	v_add_f64 v[136:137], v[142:143], v[140:141]
	v_add_f64 v[140:141], v[142:143], -v[140:141]
	s_barrier
	ds_write_b128 v156, v[168:171]
	ds_write_b128 v156, v[114:117] offset:800
	ds_write_b128 v156, v[126:129] offset:1600
	;; [unrolled: 1-line block ×9, first 2 shown]
	v_lshlrev_b32_e32 v108, 6, v152
	v_mov_b32_e32 v109, v149
	v_lshl_add_u64 v[112:113], s[10:11], 0, v[108:109]
	v_add_co_u32_e32 v108, vcc, s24, v112
	s_waitcnt lgkmcnt(0)
	s_nop 0
	v_addc_co_u32_e32 v109, vcc, 0, v113, vcc
	s_barrier
	global_load_dwordx4 v[108:111], v[108:109], off offset:3744
	v_lshl_add_u64 v[112:113], v[112:113], 0, s[22:23]
	global_load_dwordx4 v[116:119], v[112:113], off offset:16
	global_load_dwordx4 v[120:123], v[112:113], off offset:32
	s_nop 0
	global_load_dwordx4 v[112:115], v[112:113], off offset:48
	v_mov_b32_e32 v125, v149
	v_lshl_add_u64 v[128:129], s[10:11], 0, v[124:125]
	v_add_co_u32_e32 v124, vcc, s24, v128
	v_lshl_add_u64 v[136:137], v[128:129], 0, s[22:23]
	s_nop 0
	v_addc_co_u32_e32 v125, vcc, 0, v129, vcc
	global_load_dwordx4 v[124:127], v[124:125], off offset:3744
	s_nop 0
	global_load_dwordx4 v[128:131], v[136:137], off offset:16
	global_load_dwordx4 v[132:135], v[136:137], off offset:32
	s_nop 0
	global_load_dwordx4 v[136:139], v[136:137], off offset:48
	ds_read_b128 v[140:143], v148 offset:8000
	ds_read_b128 v[158:161], v148 offset:4000
	;; [unrolled: 1-line block ×4, first 2 shown]
	s_mov_b32 s10, 0x9000
	s_waitcnt vmcnt(7) lgkmcnt(3)
	v_mul_f64 v[146:147], v[142:143], v[110:111]
	v_mul_f64 v[176:177], v[140:141], v[110:111]
	v_fma_f64 v[146:147], v[140:141], v[108:109], -v[146:147]
	v_fmac_f64_e32 v[176:177], v[142:143], v[108:109]
	ds_read_b128 v[140:143], v148 offset:12000
	s_waitcnt vmcnt(6) lgkmcnt(2)
	v_mul_f64 v[172:173], v[164:165], v[118:119]
	v_fma_f64 v[178:179], v[162:163], v[116:117], -v[172:173]
	ds_read_b128 v[172:175], v148 offset:32000
	v_mul_f64 v[180:181], v[162:163], v[118:119]
	v_fmac_f64_e32 v[180:181], v[164:165], v[116:117]
	ds_read_b128 v[162:165], v148 offset:20000
	s_waitcnt vmcnt(5) lgkmcnt(3)
	v_mul_f64 v[182:183], v[170:171], v[122:123]
	v_mul_f64 v[184:185], v[168:169], v[122:123]
	v_fma_f64 v[182:183], v[168:169], v[120:121], -v[182:183]
	v_fmac_f64_e32 v[184:185], v[170:171], v[120:121]
	ds_read_b128 v[168:171], v148 offset:28000
	s_waitcnt vmcnt(4) lgkmcnt(2)
	v_mul_f64 v[186:187], v[174:175], v[114:115]
	v_fma_f64 v[186:187], v[172:173], v[112:113], -v[186:187]
	v_mul_f64 v[172:173], v[172:173], v[114:115]
	v_fmac_f64_e32 v[172:173], v[174:175], v[112:113]
	s_waitcnt vmcnt(3)
	v_mul_f64 v[174:175], v[142:143], v[126:127]
	v_fma_f64 v[174:175], v[140:141], v[124:125], -v[174:175]
	v_mul_f64 v[188:189], v[140:141], v[126:127]
	s_waitcnt vmcnt(2) lgkmcnt(1)
	v_mul_f64 v[140:141], v[164:165], v[130:131]
	v_fmac_f64_e32 v[188:189], v[142:143], v[124:125]
	v_fma_f64 v[190:191], v[162:163], v[128:129], -v[140:141]
	v_mul_f64 v[192:193], v[162:163], v[130:131]
	s_waitcnt vmcnt(1) lgkmcnt(0)
	v_mul_f64 v[162:163], v[170:171], v[134:135]
	ds_read_b128 v[140:143], v148 offset:36000
	v_fmac_f64_e32 v[192:193], v[164:165], v[128:129]
	v_fma_f64 v[194:195], v[168:169], v[132:133], -v[162:163]
	ds_read_b128 v[162:165], v148
	v_mul_f64 v[196:197], v[168:169], v[134:135]
	s_waitcnt vmcnt(0) lgkmcnt(1)
	v_mul_f64 v[168:169], v[142:143], v[138:139]
	v_mul_f64 v[200:201], v[140:141], v[138:139]
	v_fma_f64 v[198:199], v[140:141], v[136:137], -v[168:169]
	v_fmac_f64_e32 v[200:201], v[142:143], v[136:137]
	s_waitcnt lgkmcnt(0)
	v_add_f64 v[140:141], v[162:163], v[146:147]
	v_add_f64 v[142:143], v[164:165], v[176:177]
	;; [unrolled: 1-line block ×8, first 2 shown]
	ds_write_b128 v148, v[140:143]
	v_add_f64 v[140:141], v[146:147], -v[178:179]
	v_add_f64 v[142:143], v[186:187], -v[182:183]
	v_add_f64 v[202:203], v[140:141], v[142:143]
	v_add_f64 v[140:141], v[178:179], v[182:183]
	;; [unrolled: 1-line block ×3, first 2 shown]
	v_fmac_f64_e32 v[196:197], v[170:171], v[132:133]
	v_fma_f64 v[140:141], -0.5, v[140:141], v[162:163]
	v_fma_f64 v[142:143], -0.5, v[142:143], v[164:165]
	v_add_f64 v[168:169], v[176:177], -v[180:181]
	v_add_f64 v[170:171], v[172:173], -v[184:185]
	v_add_f64 v[206:207], v[176:177], -v[172:173]
	v_add_f64 v[210:211], v[146:147], -v[186:187]
	v_add_f64 v[204:205], v[168:169], v[170:171]
	v_add_f64 v[208:209], v[180:181], -v[184:185]
	v_fma_f64 v[168:169], s[2:3], v[206:207], v[140:141]
	v_fma_f64 v[170:171], s[14:15], v[210:211], v[142:143]
	v_add_f64 v[212:213], v[178:179], -v[182:183]
	v_fmac_f64_e32 v[168:169], s[8:9], v[208:209]
	v_fmac_f64_e32 v[170:171], s[12:13], v[212:213]
	;; [unrolled: 1-line block ×8, first 2 shown]
	ds_write_b128 v148, v[168:171] offset:8000
	v_add_f64 v[168:169], v[146:147], v[186:187]
	v_fmac_f64_e32 v[140:141], s[6:7], v[202:203]
	v_fmac_f64_e32 v[142:143], s[6:7], v[204:205]
	v_fmac_f64_e32 v[162:163], -0.5, v[168:169]
	v_add_f64 v[146:147], v[178:179], -v[146:147]
	v_add_f64 v[168:169], v[182:183], -v[186:187]
	ds_write_b128 v148, v[140:143] offset:32000
	v_add_f64 v[140:141], v[158:159], v[174:175]
	v_add_f64 v[142:143], v[160:161], v[188:189]
	;; [unrolled: 1-line block ×6, first 2 shown]
	v_fmac_f64_e32 v[164:165], -0.5, v[168:169]
	v_add_f64 v[168:169], v[180:181], -v[176:177]
	v_add_f64 v[170:171], v[184:185], -v[172:173]
	v_add_f64 v[140:141], v[140:141], v[194:195]
	v_add_f64 v[142:143], v[142:143], v[196:197]
	v_add_f64 v[172:173], v[168:169], v[170:171]
	v_fma_f64 v[168:169], s[14:15], v[208:209], v[162:163]
	v_fma_f64 v[170:171], s[2:3], v[212:213], v[164:165]
	v_fmac_f64_e32 v[162:163], s[2:3], v[208:209]
	v_fmac_f64_e32 v[164:165], s[14:15], v[212:213]
	v_add_f64 v[140:141], v[140:141], v[198:199]
	v_add_f64 v[142:143], v[142:143], v[200:201]
	v_fmac_f64_e32 v[168:169], s[8:9], v[206:207]
	v_fmac_f64_e32 v[170:171], s[12:13], v[210:211]
	;; [unrolled: 1-line block ×4, first 2 shown]
	ds_write_b128 v148, v[140:143] offset:4000
	v_add_f64 v[140:141], v[174:175], -v[190:191]
	v_add_f64 v[142:143], v[198:199], -v[194:195]
	v_fmac_f64_e32 v[168:169], s[6:7], v[146:147]
	v_fmac_f64_e32 v[170:171], s[6:7], v[172:173]
	;; [unrolled: 1-line block ×4, first 2 shown]
	v_add_f64 v[146:147], v[140:141], v[142:143]
	v_add_f64 v[140:141], v[190:191], v[194:195]
	v_add_f64 v[142:143], v[192:193], v[196:197]
	ds_write_b128 v148, v[168:171] offset:16000
	ds_write_b128 v148, v[162:165] offset:24000
	v_fma_f64 v[140:141], -0.5, v[140:141], v[158:159]
	v_fma_f64 v[142:143], -0.5, v[142:143], v[160:161]
	v_add_f64 v[162:163], v[188:189], -v[192:193]
	v_add_f64 v[164:165], v[200:201], -v[196:197]
	;; [unrolled: 1-line block ×4, first 2 shown]
	v_add_f64 v[168:169], v[162:163], v[164:165]
	v_add_f64 v[172:173], v[192:193], -v[196:197]
	v_fma_f64 v[162:163], s[2:3], v[170:171], v[140:141]
	v_fma_f64 v[164:165], s[14:15], v[176:177], v[142:143]
	v_add_f64 v[178:179], v[190:191], -v[194:195]
	v_fmac_f64_e32 v[162:163], s[8:9], v[172:173]
	v_fmac_f64_e32 v[164:165], s[12:13], v[178:179]
	;; [unrolled: 1-line block ×4, first 2 shown]
	ds_write_b128 v148, v[162:165] offset:12000
	v_add_f64 v[162:163], v[174:175], v[198:199]
	v_fmac_f64_e32 v[158:159], -0.5, v[162:163]
	v_add_f64 v[162:163], v[190:191], -v[174:175]
	v_add_f64 v[164:165], v[194:195], -v[198:199]
	v_add_f64 v[174:175], v[162:163], v[164:165]
	v_add_f64 v[162:163], v[188:189], v[200:201]
	v_fmac_f64_e32 v[140:141], s[14:15], v[170:171]
	v_fmac_f64_e32 v[142:143], s[2:3], v[176:177]
	v_fmac_f64_e32 v[160:161], -0.5, v[162:163]
	v_add_f64 v[162:163], v[192:193], -v[188:189]
	v_add_f64 v[164:165], v[196:197], -v[200:201]
	v_fmac_f64_e32 v[140:141], s[12:13], v[172:173]
	v_fmac_f64_e32 v[142:143], s[8:9], v[178:179]
	v_add_f64 v[180:181], v[162:163], v[164:165]
	v_fma_f64 v[162:163], s[14:15], v[172:173], v[158:159]
	v_fma_f64 v[164:165], s[2:3], v[178:179], v[160:161]
	v_fmac_f64_e32 v[158:159], s[2:3], v[172:173]
	v_fmac_f64_e32 v[160:161], s[14:15], v[178:179]
	;; [unrolled: 1-line block ×8, first 2 shown]
	ds_write_b128 v148, v[140:143] offset:36000
	v_add_co_u32_e32 v140, vcc, s10, v144
	v_fmac_f64_e32 v[162:163], s[6:7], v[174:175]
	v_fmac_f64_e32 v[164:165], s[6:7], v[180:181]
	;; [unrolled: 1-line block ×4, first 2 shown]
	v_addc_co_u32_e32 v141, vcc, 0, v145, vcc
	s_mov_b64 s[10:11], 0x9c40
	ds_write_b128 v148, v[162:165] offset:20000
	ds_write_b128 v148, v[158:161] offset:28000
	s_waitcnt lgkmcnt(0)
	s_barrier
	v_lshl_add_u64 v[146:147], v[144:145], 0, s[10:11]
	global_load_dwordx4 v[140:143], v[140:141], off offset:3136
	s_nop 0
	global_load_dwordx4 v[158:161], v[146:147], off offset:4000
	s_mov_b32 s10, 0xb000
	v_add_co_u32_e32 v146, vcc, s10, v144
	s_mov_b32 s10, 0xc000
	s_nop 0
	v_addc_co_u32_e32 v147, vcc, 0, v145, vcc
	v_add_co_u32_e32 v168, vcc, s10, v144
	s_mov_b32 s10, 0xd000
	s_nop 0
	v_addc_co_u32_e32 v169, vcc, 0, v145, vcc
	global_load_dwordx4 v[162:165], v[146:147], off offset:2944
	s_nop 0
	global_load_dwordx4 v[168:171], v[168:169], off offset:2848
	v_add_co_u32_e32 v146, vcc, s10, v144
	s_mov_b32 s10, 0xe000
	s_nop 0
	v_addc_co_u32_e32 v147, vcc, 0, v145, vcc
	v_add_co_u32_e32 v176, vcc, s10, v144
	s_mov_b32 s10, 0xf000
	s_nop 0
	v_addc_co_u32_e32 v177, vcc, 0, v145, vcc
	global_load_dwordx4 v[172:175], v[146:147], off offset:2752
	s_nop 0
	global_load_dwordx4 v[176:179], v[176:177], off offset:2656
	v_add_co_u32_e32 v146, vcc, s10, v144
	s_mov_b32 s10, 0x10000
	s_nop 0
	v_addc_co_u32_e32 v147, vcc, 0, v145, vcc
	global_load_dwordx4 v[180:183], v[146:147], off offset:2560
	v_add_co_u32_e32 v146, vcc, s10, v144
	s_mov_b32 s10, 0x11000
	s_nop 0
	v_addc_co_u32_e32 v147, vcc, 0, v145, vcc
	;; [unrolled: 5-line block ×3, first 2 shown]
	v_add_co_u32_e32 v144, vcc, s10, v144
	global_load_dwordx4 v[188:191], v[146:147], off offset:2368
	s_nop 0
	v_addc_co_u32_e32 v145, vcc, 0, v145, vcc
	global_load_dwordx4 v[144:147], v[144:145], off offset:2272
	ds_read_b128 v[192:195], v148
	ds_read_b128 v[196:199], v148 offset:36000
	ds_read_b128 v[200:203], v148 offset:4000
	s_waitcnt vmcnt(9) lgkmcnt(2)
	v_mul_f64 v[204:205], v[194:195], v[142:143]
	v_mul_f64 v[206:207], v[192:193], v[142:143]
	v_fma_f64 v[204:205], v[192:193], v[140:141], -v[204:205]
	v_fmac_f64_e32 v[206:207], v[194:195], v[140:141]
	ds_read_b128 v[140:143], v148 offset:8000
	s_waitcnt vmcnt(8) lgkmcnt(1)
	v_mul_f64 v[192:193], v[202:203], v[160:161]
	v_mul_f64 v[194:195], v[200:201], v[160:161]
	v_fma_f64 v[192:193], v[200:201], v[158:159], -v[192:193]
	v_fmac_f64_e32 v[194:195], v[202:203], v[158:159]
	ds_read_b128 v[158:161], v148 offset:12000
	s_waitcnt vmcnt(7) lgkmcnt(1)
	v_mul_f64 v[200:201], v[142:143], v[164:165]
	v_mul_f64 v[202:203], v[140:141], v[164:165]
	v_fma_f64 v[200:201], v[140:141], v[162:163], -v[200:201]
	v_fmac_f64_e32 v[202:203], v[142:143], v[162:163]
	ds_read_b128 v[140:143], v148 offset:16000
	s_waitcnt vmcnt(6) lgkmcnt(1)
	v_mul_f64 v[162:163], v[160:161], v[170:171]
	v_mul_f64 v[164:165], v[158:159], v[170:171]
	v_fma_f64 v[162:163], v[158:159], v[168:169], -v[162:163]
	v_fmac_f64_e32 v[164:165], v[160:161], v[168:169]
	ds_read_b128 v[158:161], v148 offset:20000
	s_waitcnt vmcnt(5) lgkmcnt(1)
	v_mul_f64 v[168:169], v[142:143], v[174:175]
	v_mul_f64 v[170:171], v[140:141], v[174:175]
	v_fma_f64 v[168:169], v[140:141], v[172:173], -v[168:169]
	v_fmac_f64_e32 v[170:171], v[142:143], v[172:173]
	ds_read_b128 v[140:143], v148 offset:24000
	s_waitcnt vmcnt(4) lgkmcnt(1)
	v_mul_f64 v[172:173], v[160:161], v[178:179]
	v_mul_f64 v[174:175], v[158:159], v[178:179]
	v_fma_f64 v[172:173], v[158:159], v[176:177], -v[172:173]
	v_fmac_f64_e32 v[174:175], v[160:161], v[176:177]
	s_waitcnt vmcnt(3) lgkmcnt(0)
	v_mul_f64 v[176:177], v[142:143], v[182:183]
	ds_read_b128 v[158:161], v148 offset:28000
	v_mul_f64 v[178:179], v[140:141], v[182:183]
	v_fma_f64 v[176:177], v[140:141], v[180:181], -v[176:177]
	v_fmac_f64_e32 v[178:179], v[142:143], v[180:181]
	ds_read_b128 v[140:143], v148 offset:32000
	s_waitcnt vmcnt(2) lgkmcnt(1)
	v_mul_f64 v[180:181], v[160:161], v[186:187]
	v_mul_f64 v[182:183], v[158:159], v[186:187]
	v_fma_f64 v[180:181], v[158:159], v[184:185], -v[180:181]
	v_fmac_f64_e32 v[182:183], v[160:161], v[184:185]
	s_waitcnt vmcnt(1) lgkmcnt(0)
	v_mul_f64 v[158:159], v[142:143], v[190:191]
	v_mul_f64 v[160:161], v[140:141], v[190:191]
	v_fma_f64 v[158:159], v[140:141], v[188:189], -v[158:159]
	v_fmac_f64_e32 v[160:161], v[142:143], v[188:189]
	s_waitcnt vmcnt(0)
	v_mul_f64 v[140:141], v[198:199], v[146:147]
	v_mul_f64 v[142:143], v[196:197], v[146:147]
	v_fma_f64 v[140:141], v[196:197], v[144:145], -v[140:141]
	v_fmac_f64_e32 v[142:143], v[198:199], v[144:145]
	ds_write_b128 v148, v[204:207]
	ds_write_b128 v148, v[192:195] offset:4000
	ds_write_b128 v148, v[200:203] offset:8000
	;; [unrolled: 1-line block ×9, first 2 shown]
	s_waitcnt lgkmcnt(0)
	s_barrier
	ds_read_b128 v[140:143], v148 offset:28000
	ds_read_b128 v[144:147], v148 offset:20000
	;; [unrolled: 1-line block ×8, first 2 shown]
	s_waitcnt lgkmcnt(6)
	v_add_f64 v[184:185], v[144:145], v[140:141]
	v_add_f64 v[210:211], v[144:145], -v[140:141]
	ds_read_b128 v[188:191], v148
	s_waitcnt lgkmcnt(2)
	v_add_f64 v[196:197], v[172:173], v[176:177]
	v_fma_f64 v[192:193], -0.5, v[184:185], v[168:169]
	v_add_f64 v[194:195], v[168:169], v[172:173]
	v_fmac_f64_e32 v[168:169], -0.5, v[196:197]
	v_add_f64 v[196:197], v[144:145], -v[172:173]
	v_add_f64 v[198:199], v[140:141], -v[176:177]
	v_add_f64 v[196:197], v[196:197], v[198:199]
	v_add_f64 v[198:199], v[146:147], v[142:143]
	;; [unrolled: 1-line block ×3, first 2 shown]
	ds_read_b128 v[184:187], v148 offset:16000
	v_fma_f64 v[198:199], -0.5, v[198:199], v[170:171]
	v_add_f64 v[200:201], v[170:171], v[174:175]
	v_fmac_f64_e32 v[170:171], -0.5, v[202:203]
	v_add_f64 v[202:203], v[146:147], -v[174:175]
	v_add_f64 v[204:205], v[142:143], -v[178:179]
	v_add_f64 v[202:203], v[202:203], v[204:205]
	v_add_f64 v[204:205], v[146:147], -v[142:143]
	v_fma_f64 v[212:213], s[14:15], v[210:211], v[170:171]
	v_fmac_f64_e32 v[170:171], s[2:3], v[210:211]
	v_add_f64 v[214:215], v[172:173], -v[176:177]
	v_fma_f64 v[206:207], s[2:3], v[204:205], v[168:169]
	v_fmac_f64_e32 v[168:169], s[14:15], v[204:205]
	v_add_f64 v[208:209], v[174:175], -v[178:179]
	v_fmac_f64_e32 v[170:171], s[12:13], v[214:215]
	v_fmac_f64_e32 v[168:169], s[8:9], v[208:209]
	;; [unrolled: 1-line block ×4, first 2 shown]
	v_mul_f64 v[216:217], v[170:171], s[14:15]
	v_mul_f64 v[218:219], v[170:171], s[20:21]
	v_fmac_f64_e32 v[216:217], s[20:21], v[168:169]
	v_fmac_f64_e32 v[218:219], s[2:3], v[168:169]
	s_waitcnt lgkmcnt(0)
	v_add_f64 v[168:169], v[184:185], v[158:159]
	v_fma_f64 v[220:221], -0.5, v[168:169], v[188:189]
	v_add_f64 v[168:169], v[180:181], v[162:163]
	v_add_f64 v[222:223], v[188:189], v[180:181]
	v_fmac_f64_e32 v[188:189], -0.5, v[168:169]
	v_add_f64 v[168:169], v[184:185], -v[180:181]
	v_add_f64 v[170:171], v[158:159], -v[162:163]
	v_add_f64 v[224:225], v[168:169], v[170:171]
	v_add_f64 v[168:169], v[186:187], v[160:161]
	v_fma_f64 v[226:227], -0.5, v[168:169], v[190:191]
	v_add_f64 v[228:229], v[190:191], v[182:183]
	v_add_f64 v[168:169], v[182:183], v[164:165]
	v_fmac_f64_e32 v[190:191], -0.5, v[168:169]
	v_add_f64 v[168:169], v[186:187], -v[182:183]
	v_add_f64 v[232:233], v[186:187], -v[160:161]
	;; [unrolled: 1-line block ×7, first 2 shown]
	v_add_f64 v[184:185], v[222:223], v[184:185]
	v_add_f64 v[186:187], v[228:229], v[186:187]
	v_add_f64 v[170:171], v[160:161], -v[164:165]
	v_add_f64 v[184:185], v[184:185], v[158:159]
	v_add_f64 v[186:187], v[186:187], v[160:161]
	v_add_f64 v[158:159], v[162:163], -v[158:159]
	v_add_f64 v[160:161], v[164:165], -v[160:161]
	v_add_f64 v[162:163], v[184:185], v[162:163]
	v_add_f64 v[164:165], v[186:187], v[164:165]
	v_add_f64 v[172:173], v[172:173], -v[144:145]
	v_add_f64 v[174:175], v[174:175], -v[146:147]
	v_add_f64 v[144:145], v[194:195], v[144:145]
	v_add_f64 v[146:147], v[200:201], v[146:147]
	v_add_f64 v[184:185], v[176:177], -v[140:141]
	v_add_f64 v[186:187], v[178:179], -v[142:143]
	v_add_f64 v[180:181], v[180:181], v[158:159]
	v_add_f64 v[182:183], v[182:183], v[160:161]
	v_fma_f64 v[158:159], s[14:15], v[208:209], v[192:193]
	v_fma_f64 v[160:161], s[2:3], v[214:215], v[198:199]
	v_fmac_f64_e32 v[198:199], s[14:15], v[214:215]
	v_add_f64 v[144:145], v[144:145], v[140:141]
	v_add_f64 v[146:147], v[146:147], v[142:143]
	;; [unrolled: 1-line block ×4, first 2 shown]
	v_fmac_f64_e32 v[158:159], s[12:13], v[204:205]
	v_fmac_f64_e32 v[160:161], s[8:9], v[210:211]
	v_fmac_f64_e32 v[212:213], s[8:9], v[214:215]
	v_fmac_f64_e32 v[192:193], s[2:3], v[208:209]
	v_fmac_f64_e32 v[198:199], s[12:13], v[210:211]
	v_fma_f64 v[234:235], s[2:3], v[232:233], v[188:189]
	v_fmac_f64_e32 v[188:189], s[14:15], v[232:233]
	v_fma_f64 v[240:241], s[14:15], v[238:239], v[190:191]
	v_fmac_f64_e32 v[190:191], s[2:3], v[238:239]
	v_add_f64 v[144:145], v[144:145], v[176:177]
	v_add_f64 v[146:147], v[146:147], v[178:179]
	v_fmac_f64_e32 v[158:159], s[6:7], v[184:185]
	v_fmac_f64_e32 v[160:161], s[6:7], v[186:187]
	v_fma_f64 v[172:173], s[14:15], v[236:237], v[220:221]
	v_fma_f64 v[174:175], s[2:3], v[242:243], v[226:227]
	v_fmac_f64_e32 v[206:207], s[12:13], v[208:209]
	v_fmac_f64_e32 v[212:213], s[6:7], v[202:203]
	;; [unrolled: 1-line block ×6, first 2 shown]
	v_add_f64 v[230:231], v[168:169], v[170:171]
	v_fmac_f64_e32 v[188:189], s[8:9], v[236:237]
	v_fmac_f64_e32 v[190:191], s[12:13], v[242:243]
	v_add_f64 v[140:141], v[162:163], v[144:145]
	v_add_f64 v[142:143], v[164:165], v[146:147]
	v_add_f64 v[144:145], v[162:163], -v[144:145]
	v_add_f64 v[146:147], v[164:165], -v[146:147]
	v_mul_f64 v[162:163], v[160:161], s[12:13]
	v_mul_f64 v[164:165], v[158:159], s[8:9]
	v_fmac_f64_e32 v[172:173], s[12:13], v[232:233]
	v_fmac_f64_e32 v[174:175], s[8:9], v[238:239]
	;; [unrolled: 1-line block ×5, first 2 shown]
	v_mul_f64 v[176:177], v[212:213], s[14:15]
	v_mul_f64 v[178:179], v[212:213], s[6:7]
	v_fmac_f64_e32 v[220:221], s[8:9], v[232:233]
	v_fmac_f64_e32 v[226:227], s[12:13], v[238:239]
	;; [unrolled: 1-line block ×3, first 2 shown]
	v_mul_f64 v[184:185], v[198:199], s[12:13]
	v_mul_f64 v[186:187], v[198:199], s[16:17]
	v_fmac_f64_e32 v[188:189], s[6:7], v[224:225]
	v_fmac_f64_e32 v[190:191], s[6:7], v[230:231]
	;; [unrolled: 1-line block ×14, first 2 shown]
	v_add_f64 v[168:169], v[188:189], v[216:217]
	v_add_f64 v[170:171], v[190:191], v[218:219]
	v_add_f64 v[188:189], v[188:189], -v[216:217]
	v_add_f64 v[190:191], v[190:191], -v[218:219]
	v_add_f64 v[158:159], v[172:173], v[162:163]
	v_add_f64 v[160:161], v[174:175], v[164:165]
	v_add_f64 v[162:163], v[172:173], -v[162:163]
	v_add_f64 v[164:165], v[174:175], -v[164:165]
	;; [unrolled: 4-line block ×4, first 2 shown]
	s_barrier
	ds_write_b128 v151, v[140:143]
	ds_write_b128 v151, v[158:161] offset:16
	ds_write_b128 v151, v[172:175] offset:32
	;; [unrolled: 1-line block ×9, first 2 shown]
	s_waitcnt lgkmcnt(0)
	s_barrier
	ds_read_b128 v[144:147], v148 offset:8000
	ds_read_b128 v[140:143], v148 offset:4000
	;; [unrolled: 1-line block ×3, first 2 shown]
	v_mov_b32_e32 v151, v154
	s_waitcnt lgkmcnt(2)
	v_mul_f64 v[162:163], v[54:55], v[146:147]
	v_mul_f64 v[54:55], v[54:55], v[144:145]
	v_fmac_f64_e32 v[162:163], v[52:53], v[144:145]
	v_fma_f64 v[164:165], v[52:53], v[146:147], -v[54:55]
	ds_read_b128 v[52:55], v148 offset:12000
	ds_read_b128 v[144:147], v148 offset:24000
	s_waitcnt lgkmcnt(2)
	v_mul_f64 v[168:169], v[50:51], v[160:161]
	v_mul_f64 v[50:51], v[50:51], v[158:159]
	v_fmac_f64_e32 v[168:169], v[48:49], v[158:159]
	v_fma_f64 v[170:171], v[48:49], v[160:161], -v[50:51]
	ds_read_b128 v[48:51], v148 offset:20000
	s_waitcnt lgkmcnt(1)
	v_mul_f64 v[172:173], v[46:47], v[146:147]
	v_mul_f64 v[46:47], v[46:47], v[144:145]
	ds_read_b128 v[158:161], v148 offset:32000
	v_fmac_f64_e32 v[172:173], v[44:45], v[144:145]
	v_fma_f64 v[174:175], v[44:45], v[146:147], -v[46:47]
	ds_read_b128 v[144:147], v148 offset:28000
	s_waitcnt lgkmcnt(2)
	v_mul_f64 v[46:47], v[62:63], v[50:51]
	v_mul_f64 v[44:45], v[62:63], v[48:49]
	v_fmac_f64_e32 v[46:47], v[60:61], v[48:49]
	v_fma_f64 v[44:45], v[60:61], v[50:51], -v[44:45]
	s_waitcnt lgkmcnt(0)
	v_mul_f64 v[50:51], v[58:59], v[146:147]
	ds_read_b128 v[60:63], v148 offset:36000
	v_mul_f64 v[48:49], v[58:59], v[144:145]
	v_fmac_f64_e32 v[50:51], v[56:57], v[144:145]
	v_fma_f64 v[48:49], v[56:57], v[146:147], -v[48:49]
	ds_read_b128 v[56:59], v148
	v_mul_f64 v[176:177], v[42:43], v[160:161]
	v_mul_f64 v[42:43], v[42:43], v[158:159]
	v_fmac_f64_e32 v[176:177], v[40:41], v[158:159]
	v_fma_f64 v[158:159], v[40:41], v[160:161], -v[42:43]
	v_mul_f64 v[42:43], v[66:67], v[54:55]
	v_mul_f64 v[40:41], v[66:67], v[52:53]
	v_fmac_f64_e32 v[42:43], v[64:65], v[52:53]
	v_fma_f64 v[40:41], v[64:65], v[54:55], -v[40:41]
	s_waitcnt lgkmcnt(1)
	v_mul_f64 v[54:55], v[70:71], v[62:63]
	v_mul_f64 v[52:53], v[70:71], v[60:61]
	v_fmac_f64_e32 v[54:55], v[68:69], v[60:61]
	v_fma_f64 v[52:53], v[68:69], v[62:63], -v[52:53]
	s_waitcnt lgkmcnt(0)
	v_add_f64 v[60:61], v[56:57], v[162:163]
	v_add_f64 v[62:63], v[58:59], v[164:165]
	;; [unrolled: 1-line block ×8, first 2 shown]
	s_barrier
	ds_write_b128 v153, v[60:63]
	v_add_f64 v[60:61], v[162:163], -v[168:169]
	v_add_f64 v[62:63], v[176:177], -v[172:173]
	v_add_f64 v[68:69], v[60:61], v[62:63]
	v_add_f64 v[60:61], v[168:169], v[172:173]
	;; [unrolled: 1-line block ×3, first 2 shown]
	v_fma_f64 v[60:61], -0.5, v[60:61], v[56:57]
	v_fma_f64 v[62:63], -0.5, v[62:63], v[58:59]
	v_add_f64 v[64:65], v[164:165], -v[170:171]
	v_add_f64 v[66:67], v[158:159], -v[174:175]
	;; [unrolled: 1-line block ×4, first 2 shown]
	v_add_f64 v[70:71], v[64:65], v[66:67]
	v_add_f64 v[146:147], v[170:171], -v[174:175]
	v_fma_f64 v[64:65], s[14:15], v[144:145], v[60:61]
	v_fma_f64 v[66:67], s[2:3], v[160:161], v[62:63]
	v_add_f64 v[178:179], v[168:169], -v[172:173]
	v_fmac_f64_e32 v[64:65], s[12:13], v[146:147]
	v_fmac_f64_e32 v[66:67], s[8:9], v[178:179]
	;; [unrolled: 1-line block ×4, first 2 shown]
	ds_write_b128 v153, v[64:67] offset:160
	v_add_f64 v[64:65], v[162:163], v[176:177]
	v_fmac_f64_e32 v[56:57], -0.5, v[64:65]
	v_add_f64 v[64:65], v[168:169], -v[162:163]
	v_add_f64 v[66:67], v[172:173], -v[176:177]
	v_add_f64 v[162:163], v[64:65], v[66:67]
	v_add_f64 v[64:65], v[164:165], v[158:159]
	v_fmac_f64_e32 v[58:59], -0.5, v[64:65]
	v_add_f64 v[64:65], v[170:171], -v[164:165]
	v_add_f64 v[66:67], v[174:175], -v[158:159]
	v_add_f64 v[158:159], v[64:65], v[66:67]
	v_fma_f64 v[64:65], s[2:3], v[146:147], v[56:57]
	v_fma_f64 v[66:67], s[14:15], v[178:179], v[58:59]
	v_fmac_f64_e32 v[56:57], s[14:15], v[146:147]
	v_fmac_f64_e32 v[58:59], s[2:3], v[178:179]
	;; [unrolled: 1-line block ×6, first 2 shown]
	ds_write_b128 v153, v[56:59] offset:480
	v_add_f64 v[56:57], v[140:141], v[42:43]
	v_add_f64 v[58:59], v[142:143], v[40:41]
	v_fmac_f64_e32 v[60:61], s[2:3], v[144:145]
	v_fmac_f64_e32 v[62:63], s[14:15], v[160:161]
	v_add_f64 v[56:57], v[56:57], v[46:47]
	v_add_f64 v[58:59], v[58:59], v[44:45]
	v_fmac_f64_e32 v[64:65], s[12:13], v[144:145]
	v_fmac_f64_e32 v[66:67], s[8:9], v[160:161]
	;; [unrolled: 1-line block ×4, first 2 shown]
	v_add_f64 v[56:57], v[56:57], v[50:51]
	v_add_f64 v[58:59], v[58:59], v[48:49]
	v_fmac_f64_e32 v[64:65], s[6:7], v[162:163]
	v_fmac_f64_e32 v[66:67], s[6:7], v[158:159]
	v_fmac_f64_e32 v[60:61], s[6:7], v[68:69]
	v_fmac_f64_e32 v[62:63], s[6:7], v[70:71]
	v_add_f64 v[56:57], v[56:57], v[54:55]
	v_add_f64 v[58:59], v[58:59], v[52:53]
	ds_write_b128 v153, v[64:67] offset:320
	ds_write_b128 v153, v[60:63] offset:640
	ds_write_b128 v166, v[56:59]
	v_add_f64 v[56:57], v[42:43], -v[46:47]
	v_add_f64 v[58:59], v[54:55], -v[50:51]
	v_add_f64 v[64:65], v[56:57], v[58:59]
	v_add_f64 v[56:57], v[46:47], v[50:51]
	;; [unrolled: 1-line block ×3, first 2 shown]
	v_fma_f64 v[56:57], -0.5, v[56:57], v[140:141]
	v_fma_f64 v[58:59], -0.5, v[58:59], v[142:143]
	v_add_f64 v[60:61], v[40:41], -v[44:45]
	v_add_f64 v[62:63], v[52:53], -v[48:49]
	;; [unrolled: 1-line block ×4, first 2 shown]
	v_add_f64 v[66:67], v[60:61], v[62:63]
	v_add_f64 v[70:71], v[44:45], -v[48:49]
	v_fma_f64 v[60:61], s[14:15], v[68:69], v[56:57]
	v_fma_f64 v[62:63], s[2:3], v[144:145], v[58:59]
	v_add_f64 v[146:147], v[46:47], -v[50:51]
	v_fmac_f64_e32 v[60:61], s[12:13], v[70:71]
	v_fmac_f64_e32 v[62:63], s[8:9], v[146:147]
	;; [unrolled: 1-line block ×4, first 2 shown]
	ds_write_b128 v166, v[60:63] offset:160
	v_add_f64 v[60:61], v[42:43], v[54:55]
	v_add_f64 v[42:43], v[46:47], -v[42:43]
	v_add_f64 v[46:47], v[50:51], -v[54:55]
	v_add_f64 v[46:47], v[42:43], v[46:47]
	v_add_f64 v[42:43], v[40:41], v[52:53]
	v_fmac_f64_e32 v[140:141], -0.5, v[60:61]
	v_fmac_f64_e32 v[142:143], -0.5, v[42:43]
	v_add_f64 v[40:41], v[44:45], -v[40:41]
	v_add_f64 v[42:43], v[48:49], -v[52:53]
	v_add_f64 v[44:45], v[40:41], v[42:43]
	v_fma_f64 v[40:41], s[2:3], v[70:71], v[140:141]
	v_fma_f64 v[42:43], s[14:15], v[146:147], v[142:143]
	v_fmac_f64_e32 v[140:141], s[14:15], v[70:71]
	v_fmac_f64_e32 v[142:143], s[2:3], v[146:147]
	;; [unrolled: 1-line block ×16, first 2 shown]
	ds_write_b128 v166, v[40:43] offset:320
	ds_write_b128 v166, v[140:143] offset:480
	;; [unrolled: 1-line block ×3, first 2 shown]
	s_waitcnt lgkmcnt(0)
	s_barrier
	ds_read_b128 v[40:43], v148 offset:4000
	ds_read_b128 v[46:49], v148 offset:8000
	;; [unrolled: 1-line block ×4, first 2 shown]
	s_waitcnt lgkmcnt(3)
	v_mul_f64 v[140:141], v[82:83], v[42:43]
	v_fmac_f64_e32 v[140:141], v[80:81], v[40:41]
	v_mul_f64 v[40:41], v[82:83], v[40:41]
	v_fma_f64 v[82:83], v[80:81], v[42:43], -v[40:41]
	ds_read_b128 v[40:43], v148 offset:12000
	s_waitcnt lgkmcnt(3)
	v_mul_f64 v[44:45], v[78:79], v[48:49]
	v_fmac_f64_e32 v[44:45], v[76:77], v[46:47]
	v_mul_f64 v[46:47], v[78:79], v[46:47]
	v_fma_f64 v[48:49], v[76:77], v[48:49], -v[46:47]
	s_waitcnt lgkmcnt(0)
	v_mul_f64 v[46:47], v[74:75], v[42:43]
	v_fmac_f64_e32 v[46:47], v[72:73], v[40:41]
	v_mul_f64 v[40:41], v[74:75], v[40:41]
	v_fma_f64 v[50:51], v[72:73], v[42:43], -v[40:41]
	ds_read_b128 v[40:43], v148 offset:20000
	v_mul_f64 v[54:55], v[86:87], v[58:59]
	v_fmac_f64_e32 v[54:55], v[84:85], v[56:57]
	v_mul_f64 v[52:53], v[86:87], v[56:57]
	ds_read_b128 v[74:77], v148 offset:32000
	s_waitcnt lgkmcnt(1)
	v_mul_f64 v[56:57], v[90:91], v[42:43]
	v_fmac_f64_e32 v[56:57], v[88:89], v[40:41]
	v_mul_f64 v[40:41], v[90:91], v[40:41]
	v_fma_f64 v[60:61], v[88:89], v[42:43], -v[40:41]
	ds_read_b128 v[40:43], v148 offset:28000
	v_mul_f64 v[62:63], v[102:103], v[66:67]
	v_fma_f64 v[58:59], v[84:85], v[58:59], -v[52:53]
	v_fmac_f64_e32 v[62:63], v[100:101], v[64:65]
	v_mul_f64 v[52:53], v[102:103], v[64:65]
	s_waitcnt lgkmcnt(0)
	v_mul_f64 v[64:65], v[98:99], v[42:43]
	v_fmac_f64_e32 v[64:65], v[96:97], v[40:41]
	v_mul_f64 v[40:41], v[98:99], v[40:41]
	ds_read_b128 v[78:81], v148 offset:36000
	v_fma_f64 v[68:69], v[96:97], v[42:43], -v[40:41]
	v_mul_f64 v[72:73], v[94:95], v[76:77]
	v_mul_f64 v[40:41], v[94:95], v[74:75]
	v_fmac_f64_e32 v[72:73], v[92:93], v[74:75]
	v_fma_f64 v[74:75], v[92:93], v[76:77], -v[40:41]
	ds_read_b128 v[40:43], v148
	v_fma_f64 v[66:67], v[100:101], v[66:67], -v[52:53]
	s_waitcnt lgkmcnt(1)
	v_mul_f64 v[76:77], v[106:107], v[80:81]
	v_mul_f64 v[52:53], v[106:107], v[78:79]
	v_fmac_f64_e32 v[76:77], v[104:105], v[78:79]
	v_fma_f64 v[78:79], v[104:105], v[80:81], -v[52:53]
	v_add_f64 v[52:53], v[54:55], v[62:63]
	v_add_f64 v[70:71], v[44:45], v[72:73]
	s_waitcnt lgkmcnt(0)
	v_fma_f64 v[52:53], -0.5, v[52:53], v[40:41]
	v_add_f64 v[86:87], v[40:41], v[44:45]
	v_fmac_f64_e32 v[40:41], -0.5, v[70:71]
	v_add_f64 v[70:71], v[54:55], -v[44:45]
	v_add_f64 v[80:81], v[62:63], -v[72:73]
	v_add_f64 v[80:81], v[70:71], v[80:81]
	v_add_f64 v[70:71], v[58:59], v[66:67]
	v_add_f64 v[84:85], v[48:49], v[74:75]
	v_fma_f64 v[70:71], -0.5, v[70:71], v[42:43]
	v_add_f64 v[88:89], v[42:43], v[48:49]
	v_fmac_f64_e32 v[42:43], -0.5, v[84:85]
	v_add_f64 v[84:85], v[58:59], -v[48:49]
	v_add_f64 v[90:91], v[66:67], -v[74:75]
	v_add_f64 v[94:95], v[84:85], v[90:91]
	v_add_f64 v[84:85], v[56:57], v[64:65]
	v_fma_f64 v[96:97], -0.5, v[84:85], v[140:141]
	v_add_f64 v[84:85], v[46:47], v[76:77]
	v_add_f64 v[90:91], v[140:141], v[46:47]
	v_fmac_f64_e32 v[140:141], -0.5, v[84:85]
	v_add_f64 v[84:85], v[56:57], -v[46:47]
	v_add_f64 v[92:93], v[64:65], -v[76:77]
	v_add_f64 v[98:99], v[84:85], v[92:93]
	v_add_f64 v[84:85], v[60:61], v[68:69]
	v_fma_f64 v[100:101], -0.5, v[84:85], v[82:83]
	v_add_f64 v[84:85], v[50:51], v[78:79]
	v_add_f64 v[92:93], v[82:83], v[50:51]
	v_fmac_f64_e32 v[82:83], -0.5, v[84:85]
	v_add_f64 v[144:145], v[56:57], -v[64:65]
	v_add_f64 v[84:85], v[60:61], -v[50:51]
	;; [unrolled: 1-line block ×4, first 2 shown]
	v_fma_f64 v[146:147], s[14:15], v[144:145], v[82:83]
	v_fmac_f64_e32 v[82:83], s[2:3], v[144:145]
	v_add_f64 v[158:159], v[46:47], -v[76:77]
	v_add_f64 v[102:103], v[84:85], v[102:103]
	v_fma_f64 v[106:107], s[2:3], v[104:105], v[140:141]
	v_fmac_f64_e32 v[140:141], s[14:15], v[104:105]
	v_add_f64 v[142:143], v[50:51], -v[78:79]
	v_fmac_f64_e32 v[82:83], s[12:13], v[158:159]
	v_fmac_f64_e32 v[140:141], s[8:9], v[142:143]
	;; [unrolled: 1-line block ×4, first 2 shown]
	v_mul_f64 v[160:161], v[82:83], s[14:15]
	v_mul_f64 v[162:163], v[82:83], s[20:21]
	v_fmac_f64_e32 v[160:161], s[20:21], v[140:141]
	v_fmac_f64_e32 v[162:163], s[2:3], v[140:141]
	v_add_f64 v[140:141], v[58:59], -v[66:67]
	v_fma_f64 v[164:165], s[2:3], v[140:141], v[40:41]
	v_fmac_f64_e32 v[40:41], s[14:15], v[140:141]
	v_add_f64 v[166:167], v[48:49], -v[74:75]
	v_fmac_f64_e32 v[40:41], s[8:9], v[166:167]
	v_add_f64 v[168:169], v[54:55], -v[62:63]
	v_add_f64 v[86:87], v[86:87], v[54:55]
	v_fmac_f64_e32 v[40:41], s[6:7], v[80:81]
	v_fma_f64 v[170:171], s[14:15], v[168:169], v[42:43]
	v_fmac_f64_e32 v[42:43], s[2:3], v[168:169]
	v_add_f64 v[172:173], v[44:45], -v[72:73]
	v_add_f64 v[86:87], v[86:87], v[62:63]
	v_fmac_f64_e32 v[42:43], s[12:13], v[172:173]
	v_add_f64 v[82:83], v[40:41], v[160:161]
	v_add_f64 v[40:41], v[40:41], -v[160:161]
	v_add_f64 v[160:161], v[86:87], v[72:73]
	v_add_f64 v[86:87], v[88:89], v[58:59]
	v_fmac_f64_e32 v[42:43], s[6:7], v[94:95]
	v_add_f64 v[86:87], v[86:87], v[66:67]
	v_add_f64 v[44:45], v[44:45], -v[54:55]
	v_add_f64 v[54:55], v[72:73], -v[62:63]
	v_add_f64 v[84:85], v[42:43], v[162:163]
	v_add_f64 v[42:43], v[42:43], -v[162:163]
	v_add_f64 v[162:163], v[86:87], v[74:75]
	v_add_f64 v[86:87], v[90:91], v[56:57]
	;; [unrolled: 1-line block ×3, first 2 shown]
	v_add_f64 v[44:45], v[48:49], -v[58:59]
	v_add_f64 v[48:49], v[74:75], -v[66:67]
	v_add_f64 v[86:87], v[86:87], v[64:65]
	v_add_f64 v[66:67], v[44:45], v[48:49]
	v_add_f64 v[44:45], v[46:47], -v[56:57]
	v_add_f64 v[46:47], v[76:77], -v[64:65]
	v_add_f64 v[90:91], v[86:87], v[76:77]
	v_add_f64 v[86:87], v[92:93], v[60:61]
	;; [unrolled: 1-line block ×3, first 2 shown]
	v_add_f64 v[44:45], v[50:51], -v[60:61]
	v_add_f64 v[46:47], v[78:79], -v[68:69]
	v_add_f64 v[86:87], v[86:87], v[68:69]
	v_add_f64 v[68:69], v[44:45], v[46:47]
	v_fma_f64 v[46:47], s[2:3], v[158:159], v[100:101]
	v_fmac_f64_e32 v[100:101], s[14:15], v[158:159]
	v_fma_f64 v[44:45], s[14:15], v[142:143], v[96:97]
	v_fmac_f64_e32 v[46:47], s[8:9], v[144:145]
	v_fma_f64 v[56:57], s[2:3], v[172:173], v[70:71]
	v_fmac_f64_e32 v[146:147], s[8:9], v[158:159]
	v_fmac_f64_e32 v[70:71], s[14:15], v[172:173]
	v_fmac_f64_e32 v[96:97], s[2:3], v[142:143]
	;; [unrolled: 1-line block ×5, first 2 shown]
	v_fma_f64 v[54:55], s[14:15], v[166:167], v[52:53]
	v_fmac_f64_e32 v[56:57], s[8:9], v[168:169]
	v_fmac_f64_e32 v[106:107], s[12:13], v[142:143]
	;; [unrolled: 1-line block ×8, first 2 shown]
	v_mul_f64 v[48:49], v[46:47], s[12:13]
	v_mul_f64 v[50:51], v[46:47], s[18:19]
	v_fmac_f64_e32 v[54:55], s[12:13], v[140:141]
	v_fmac_f64_e32 v[56:57], s[6:7], v[66:67]
	;; [unrolled: 1-line block ×5, first 2 shown]
	v_mul_f64 v[58:59], v[146:147], s[14:15]
	v_mul_f64 v[60:61], v[146:147], s[6:7]
	v_fmac_f64_e32 v[52:53], s[8:9], v[140:141]
	v_fmac_f64_e32 v[70:71], s[6:7], v[66:67]
	;; [unrolled: 1-line block ×3, first 2 shown]
	v_mul_f64 v[66:67], v[100:101], s[12:13]
	v_mul_f64 v[68:69], v[100:101], s[16:17]
	v_add_f64 v[92:93], v[86:87], v[78:79]
	v_fmac_f64_e32 v[48:49], s[18:19], v[44:45]
	v_fmac_f64_e32 v[50:51], s[8:9], v[44:45]
	;; [unrolled: 1-line block ×10, first 2 shown]
	v_add_f64 v[86:87], v[160:161], v[90:91]
	v_add_f64 v[88:89], v[162:163], v[92:93]
	;; [unrolled: 1-line block ×4, first 2 shown]
	v_add_f64 v[48:49], v[54:55], -v[48:49]
	v_add_f64 v[50:51], v[56:57], -v[50:51]
	v_add_f64 v[54:55], v[164:165], v[58:59]
	v_add_f64 v[56:57], v[170:171], v[60:61]
	v_add_f64 v[58:59], v[164:165], -v[58:59]
	v_add_f64 v[60:61], v[170:171], -v[60:61]
	v_add_f64 v[62:63], v[52:53], v[66:67]
	v_add_f64 v[64:65], v[70:71], v[68:69]
	v_add_f64 v[66:67], v[52:53], -v[66:67]
	v_add_f64 v[68:69], v[70:71], -v[68:69]
	v_add_f64 v[90:91], v[160:161], -v[90:91]
	v_add_f64 v[92:93], v[162:163], -v[92:93]
	s_barrier
	ds_write_b128 v156, v[86:89]
	ds_write_b128 v156, v[44:47] offset:800
	ds_write_b128 v156, v[54:57] offset:1600
	;; [unrolled: 1-line block ×9, first 2 shown]
	s_waitcnt lgkmcnt(0)
	s_barrier
	ds_read_b128 v[44:47], v148 offset:8000
	ds_read_b128 v[40:43], v148 offset:4000
	;; [unrolled: 1-line block ×8, first 2 shown]
	s_waitcnt lgkmcnt(7)
	v_mul_f64 v[76:77], v[110:111], v[46:47]
	v_fmac_f64_e32 v[76:77], v[108:109], v[44:45]
	v_mul_f64 v[44:45], v[110:111], v[44:45]
	s_waitcnt lgkmcnt(5)
	v_mul_f64 v[80:81], v[118:119], v[50:51]
	v_fma_f64 v[78:79], v[108:109], v[46:47], -v[44:45]
	ds_read_b128 v[44:47], v148
	ds_read_b128 v[72:75], v148 offset:36000
	v_fmac_f64_e32 v[80:81], v[116:117], v[48:49]
	v_mul_f64 v[48:49], v[118:119], v[48:49]
	v_fma_f64 v[82:83], v[116:117], v[50:51], -v[48:49]
	s_waitcnt lgkmcnt(5)
	v_mul_f64 v[84:85], v[122:123], v[58:59]
	v_mul_f64 v[48:49], v[122:123], v[56:57]
	v_fmac_f64_e32 v[84:85], v[120:121], v[56:57]
	v_fma_f64 v[86:87], v[120:121], v[58:59], -v[48:49]
	s_waitcnt lgkmcnt(3)
	v_mul_f64 v[58:59], v[114:115], v[66:67]
	v_mul_f64 v[48:49], v[114:115], v[64:65]
	v_fmac_f64_e32 v[58:59], v[112:113], v[64:65]
	v_fma_f64 v[64:65], v[112:113], v[66:67], -v[48:49]
	v_mul_f64 v[88:89], v[126:127], v[54:55]
	v_mul_f64 v[48:49], v[126:127], v[52:53]
	v_add_f64 v[50:51], v[80:81], v[84:85]
	v_fmac_f64_e32 v[88:89], v[124:125], v[52:53]
	v_fma_f64 v[90:91], v[124:125], v[54:55], -v[48:49]
	v_mul_f64 v[92:93], v[130:131], v[62:63]
	v_mul_f64 v[48:49], v[130:131], v[60:61]
	s_waitcnt lgkmcnt(1)
	v_fma_f64 v[52:53], -0.5, v[50:51], v[44:45]
	v_add_f64 v[50:51], v[78:79], -v[64:65]
	v_fmac_f64_e32 v[92:93], v[128:129], v[60:61]
	v_fma_f64 v[94:95], v[128:129], v[62:63], -v[48:49]
	v_fma_f64 v[56:57], s[14:15], v[50:51], v[52:53]
	v_add_f64 v[54:55], v[82:83], -v[86:87]
	v_add_f64 v[60:61], v[76:77], -v[80:81]
	;; [unrolled: 1-line block ×3, first 2 shown]
	v_fmac_f64_e32 v[52:53], s[2:3], v[50:51]
	v_mul_f64 v[48:49], v[134:135], v[68:69]
	v_fmac_f64_e32 v[56:57], s[12:13], v[54:55]
	v_add_f64 v[60:61], v[60:61], v[62:63]
	v_fmac_f64_e32 v[52:53], s[8:9], v[54:55]
	v_fma_f64 v[98:99], v[132:133], v[70:71], -v[48:49]
	s_waitcnt lgkmcnt(0)
	v_mul_f64 v[48:49], v[138:139], v[72:73]
	v_fmac_f64_e32 v[56:57], s[6:7], v[60:61]
	v_fmac_f64_e32 v[52:53], s[6:7], v[60:61]
	v_add_f64 v[60:61], v[76:77], v[58:59]
	v_fma_f64 v[102:103], v[136:137], v[74:75], -v[48:49]
	v_add_f64 v[48:49], v[44:45], v[76:77]
	v_fmac_f64_e32 v[44:45], -0.5, v[60:61]
	v_add_f64 v[48:49], v[48:49], v[80:81]
	v_fma_f64 v[60:61], s[2:3], v[54:55], v[44:45]
	v_add_f64 v[62:63], v[80:81], -v[76:77]
	v_add_f64 v[66:67], v[84:85], -v[58:59]
	v_fmac_f64_e32 v[44:45], s[14:15], v[54:55]
	v_add_f64 v[54:55], v[82:83], v[86:87]
	v_mul_f64 v[96:97], v[134:135], v[70:71]
	v_add_f64 v[48:49], v[48:49], v[84:85]
	v_fmac_f64_e32 v[60:61], s[12:13], v[50:51]
	v_add_f64 v[62:63], v[62:63], v[66:67]
	v_fmac_f64_e32 v[44:45], s[8:9], v[50:51]
	v_fma_f64 v[54:55], -0.5, v[54:55], v[46:47]
	v_add_f64 v[66:67], v[76:77], -v[58:59]
	v_fmac_f64_e32 v[96:97], v[132:133], v[68:69]
	v_add_f64 v[48:49], v[48:49], v[58:59]
	v_fmac_f64_e32 v[60:61], s[6:7], v[62:63]
	v_fmac_f64_e32 v[44:45], s[6:7], v[62:63]
	v_fma_f64 v[58:59], s[2:3], v[66:67], v[54:55]
	v_add_f64 v[68:69], v[80:81], -v[84:85]
	v_add_f64 v[62:63], v[78:79], -v[82:83]
	;; [unrolled: 1-line block ×3, first 2 shown]
	v_fmac_f64_e32 v[54:55], s[14:15], v[66:67]
	v_fmac_f64_e32 v[58:59], s[8:9], v[68:69]
	v_add_f64 v[62:63], v[62:63], v[70:71]
	v_fmac_f64_e32 v[54:55], s[12:13], v[68:69]
	v_fmac_f64_e32 v[58:59], s[6:7], v[62:63]
	;; [unrolled: 1-line block ×3, first 2 shown]
	v_add_f64 v[62:63], v[78:79], v[64:65]
	v_add_f64 v[50:51], v[46:47], v[78:79]
	v_fmac_f64_e32 v[46:47], -0.5, v[62:63]
	v_add_f64 v[50:51], v[50:51], v[82:83]
	v_fma_f64 v[62:63], s[14:15], v[68:69], v[46:47]
	v_fmac_f64_e32 v[46:47], s[2:3], v[68:69]
	v_mul_f64 v[100:101], v[138:139], v[74:75]
	v_add_f64 v[50:51], v[50:51], v[86:87]
	v_fmac_f64_e32 v[62:63], s[8:9], v[66:67]
	v_fmac_f64_e32 v[46:47], s[12:13], v[66:67]
	v_add_f64 v[66:67], v[92:93], v[96:97]
	v_fmac_f64_e32 v[100:101], v[136:137], v[72:73]
	v_add_f64 v[50:51], v[50:51], v[64:65]
	v_add_f64 v[70:71], v[82:83], -v[78:79]
	v_add_f64 v[64:65], v[86:87], -v[64:65]
	v_fma_f64 v[68:69], -0.5, v[66:67], v[40:41]
	v_add_f64 v[66:67], v[90:91], -v[102:103]
	v_add_f64 v[64:65], v[70:71], v[64:65]
	v_fma_f64 v[72:73], s[14:15], v[66:67], v[68:69]
	v_add_f64 v[70:71], v[94:95], -v[98:99]
	v_add_f64 v[74:75], v[88:89], -v[92:93]
	;; [unrolled: 1-line block ×3, first 2 shown]
	v_fmac_f64_e32 v[68:69], s[2:3], v[66:67]
	v_fmac_f64_e32 v[72:73], s[12:13], v[70:71]
	v_add_f64 v[74:75], v[74:75], v[76:77]
	v_fmac_f64_e32 v[68:69], s[8:9], v[70:71]
	v_fmac_f64_e32 v[72:73], s[6:7], v[74:75]
	;; [unrolled: 1-line block ×3, first 2 shown]
	v_add_f64 v[74:75], v[88:89], v[100:101]
	v_fmac_f64_e32 v[62:63], s[6:7], v[64:65]
	v_fmac_f64_e32 v[46:47], s[6:7], v[64:65]
	v_add_f64 v[64:65], v[40:41], v[88:89]
	v_fmac_f64_e32 v[40:41], -0.5, v[74:75]
	v_fma_f64 v[76:77], s[2:3], v[70:71], v[40:41]
	v_add_f64 v[74:75], v[92:93], -v[88:89]
	v_add_f64 v[78:79], v[96:97], -v[100:101]
	v_fmac_f64_e32 v[40:41], s[14:15], v[70:71]
	v_add_f64 v[70:71], v[94:95], v[98:99]
	v_fmac_f64_e32 v[76:77], s[12:13], v[66:67]
	v_add_f64 v[74:75], v[74:75], v[78:79]
	v_fmac_f64_e32 v[40:41], s[8:9], v[66:67]
	v_fma_f64 v[70:71], -0.5, v[70:71], v[42:43]
	v_add_f64 v[80:81], v[88:89], -v[100:101]
	v_fmac_f64_e32 v[76:77], s[6:7], v[74:75]
	v_fmac_f64_e32 v[40:41], s[6:7], v[74:75]
	v_fma_f64 v[74:75], s[2:3], v[80:81], v[70:71]
	v_add_f64 v[82:83], v[92:93], -v[96:97]
	v_add_f64 v[78:79], v[90:91], -v[94:95]
	;; [unrolled: 1-line block ×3, first 2 shown]
	v_fmac_f64_e32 v[70:71], s[14:15], v[80:81]
	v_fmac_f64_e32 v[74:75], s[8:9], v[82:83]
	v_add_f64 v[78:79], v[78:79], v[84:85]
	v_fmac_f64_e32 v[70:71], s[12:13], v[82:83]
	v_fmac_f64_e32 v[74:75], s[6:7], v[78:79]
	;; [unrolled: 1-line block ×3, first 2 shown]
	v_add_f64 v[78:79], v[90:91], v[102:103]
	v_add_f64 v[66:67], v[42:43], v[90:91]
	v_fmac_f64_e32 v[42:43], -0.5, v[78:79]
	v_fma_f64 v[78:79], s[14:15], v[82:83], v[42:43]
	v_add_f64 v[84:85], v[94:95], -v[90:91]
	v_add_f64 v[86:87], v[98:99], -v[102:103]
	v_fmac_f64_e32 v[42:43], s[2:3], v[82:83]
	v_add_f64 v[64:65], v[64:65], v[92:93]
	v_add_f64 v[66:67], v[66:67], v[94:95]
	;; [unrolled: 1-line block ×3, first 2 shown]
	v_fmac_f64_e32 v[42:43], s[12:13], v[80:81]
	v_add_f64 v[64:65], v[64:65], v[96:97]
	v_add_f64 v[66:67], v[66:67], v[98:99]
	v_fmac_f64_e32 v[78:79], s[8:9], v[80:81]
	v_fmac_f64_e32 v[42:43], s[6:7], v[84:85]
	v_add_f64 v[64:65], v[64:65], v[100:101]
	v_add_f64 v[66:67], v[66:67], v[102:103]
	v_fmac_f64_e32 v[78:79], s[6:7], v[84:85]
	ds_write_b128 v148, v[48:51]
	ds_write_b128 v148, v[56:59] offset:8000
	ds_write_b128 v148, v[60:63] offset:16000
	;; [unrolled: 1-line block ×9, first 2 shown]
	s_waitcnt lgkmcnt(0)
	s_barrier
	ds_read_b128 v[40:43], v148
	ds_read_b128 v[44:47], v148 offset:36000
	v_mov_b32_e32 v52, s0
	v_mov_b32_e32 v53, s1
	s_mov_b32 s0, 0xeb1c432d
	s_waitcnt lgkmcnt(1)
	v_mul_f64 v[48:49], v[6:7], v[42:43]
	v_mul_f64 v[6:7], v[6:7], v[40:41]
	v_fmac_f64_e32 v[48:49], v[4:5], v[40:41]
	s_mov_b32 s1, 0x3f3a36e2
	v_fma_f64 v[4:5], v[4:5], v[42:43], -v[6:7]
	v_mad_u64_u32 v[40:41], s[2:3], s4, v152, 0
	v_mul_f64 v[50:51], v[4:5], s[0:1]
	v_mov_b32_e32 v4, v41
	v_mad_u64_u32 v[4:5], s[2:3], s5, v152, v[4:5]
	v_mov_b32_e32 v41, v4
	ds_read_b128 v[4:7], v148 offset:4000
	v_lshl_add_u64 v[42:43], v[150:151], 4, v[52:53]
	v_lshl_add_u64 v[52:53], v[40:41], 4, v[42:43]
	ds_read_b128 v[40:43], v148 offset:8000
	v_mul_f64 v[48:49], v[48:49], s[0:1]
	global_store_dwordx4 v[52:53], v[48:51], off
	v_mad_u64_u32 v[52:53], s[2:3], s4, v155, v[52:53]
	s_waitcnt lgkmcnt(1)
	v_mul_f64 v[48:49], v[2:3], v[6:7]
	v_mul_f64 v[2:3], v[2:3], v[4:5]
	v_fmac_f64_e32 v[48:49], v[0:1], v[4:5]
	v_fma_f64 v[0:1], v[0:1], v[6:7], -v[2:3]
	s_mulk_i32 s5, 0xfa0
	v_mul_f64 v[50:51], v[0:1], s[0:1]
	v_add_u32_e32 v53, s5, v53
	s_waitcnt lgkmcnt(0)
	v_mul_f64 v[0:1], v[14:15], v[42:43]
	v_mul_f64 v[2:3], v[14:15], v[40:41]
	ds_read_b128 v[4:7], v148 offset:12000
	v_fmac_f64_e32 v[0:1], v[12:13], v[40:41]
	v_fma_f64 v[2:3], v[12:13], v[42:43], -v[2:3]
	v_mad_u64_u32 v[40:41], s[2:3], s4, v155, v[52:53]
	v_mul_f64 v[48:49], v[48:49], s[0:1]
	v_mul_f64 v[0:1], v[0:1], s[0:1]
	;; [unrolled: 1-line block ×3, first 2 shown]
	v_add_u32_e32 v41, s5, v41
	global_store_dwordx4 v[52:53], v[48:51], off
	global_store_dwordx4 v[40:41], v[0:3], off
	ds_read_b128 v[0:3], v148 offset:16000
	s_waitcnt lgkmcnt(1)
	v_mul_f64 v[12:13], v[10:11], v[6:7]
	v_fmac_f64_e32 v[12:13], v[8:9], v[4:5]
	v_mul_f64 v[4:5], v[10:11], v[4:5]
	v_fma_f64 v[4:5], v[8:9], v[6:7], -v[4:5]
	v_mul_f64 v[14:15], v[4:5], s[0:1]
	s_waitcnt lgkmcnt(0)
	v_mul_f64 v[4:5], v[22:23], v[2:3]
	v_fmac_f64_e32 v[4:5], v[20:21], v[0:1]
	v_mul_f64 v[0:1], v[22:23], v[0:1]
	v_mad_u64_u32 v[8:9], s[2:3], s4, v155, v[40:41]
	v_fma_f64 v[0:1], v[20:21], v[2:3], -v[0:1]
	v_mul_f64 v[12:13], v[12:13], s[0:1]
	v_add_u32_e32 v9, s5, v9
	v_mul_f64 v[6:7], v[0:1], s[0:1]
	ds_read_b128 v[0:3], v148 offset:20000
	global_store_dwordx4 v[8:9], v[12:15], off
	v_mul_f64 v[4:5], v[4:5], s[0:1]
	s_nop 0
	v_mad_u64_u32 v[12:13], s[2:3], s4, v155, v[8:9]
	v_add_u32_e32 v13, s5, v13
	global_store_dwordx4 v[12:13], v[4:7], off
	ds_read_b128 v[4:7], v148 offset:24000
	s_waitcnt lgkmcnt(1)
	v_mul_f64 v[8:9], v[18:19], v[2:3]
	v_fmac_f64_e32 v[8:9], v[16:17], v[0:1]
	v_mul_f64 v[0:1], v[18:19], v[0:1]
	v_fma_f64 v[0:1], v[16:17], v[2:3], -v[0:1]
	v_mul_f64 v[10:11], v[0:1], s[0:1]
	v_mad_u64_u32 v[12:13], s[2:3], s4, v155, v[12:13]
	s_waitcnt lgkmcnt(0)
	v_mul_f64 v[0:1], v[30:31], v[6:7]
	v_mul_f64 v[2:3], v[30:31], v[4:5]
	;; [unrolled: 1-line block ×3, first 2 shown]
	v_add_u32_e32 v13, s5, v13
	v_fmac_f64_e32 v[0:1], v[28:29], v[4:5]
	v_fma_f64 v[2:3], v[28:29], v[6:7], -v[2:3]
	ds_read_b128 v[4:7], v148 offset:28000
	global_store_dwordx4 v[12:13], v[8:11], off
	v_mad_u64_u32 v[12:13], s[2:3], s4, v155, v[12:13]
	v_mul_f64 v[0:1], v[0:1], s[0:1]
	v_mul_f64 v[2:3], v[2:3], s[0:1]
	v_add_u32_e32 v13, s5, v13
	global_store_dwordx4 v[12:13], v[0:3], off
	ds_read_b128 v[0:3], v148 offset:32000
	s_waitcnt lgkmcnt(1)
	v_mul_f64 v[8:9], v[26:27], v[6:7]
	v_fmac_f64_e32 v[8:9], v[24:25], v[4:5]
	v_mul_f64 v[4:5], v[26:27], v[4:5]
	v_fma_f64 v[4:5], v[24:25], v[6:7], -v[4:5]
	v_mul_f64 v[10:11], v[4:5], s[0:1]
	s_waitcnt lgkmcnt(0)
	v_mul_f64 v[4:5], v[34:35], v[2:3]
	v_mad_u64_u32 v[12:13], s[2:3], s4, v155, v[12:13]
	v_fmac_f64_e32 v[4:5], v[32:33], v[0:1]
	v_mul_f64 v[0:1], v[34:35], v[0:1]
	v_mul_f64 v[8:9], v[8:9], s[0:1]
	v_add_u32_e32 v13, s5, v13
	v_fma_f64 v[0:1], v[32:33], v[2:3], -v[0:1]
	global_store_dwordx4 v[12:13], v[8:11], off
	v_mul_f64 v[6:7], v[0:1], s[0:1]
	v_mul_f64 v[0:1], v[38:39], v[46:47]
	v_mad_u64_u32 v[8:9], s[2:3], s4, v155, v[12:13]
	v_mul_f64 v[2:3], v[38:39], v[44:45]
	v_mul_f64 v[4:5], v[4:5], s[0:1]
	v_add_u32_e32 v9, s5, v9
	v_fmac_f64_e32 v[0:1], v[36:37], v[44:45]
	v_fma_f64 v[2:3], v[36:37], v[46:47], -v[2:3]
	global_store_dwordx4 v[8:9], v[4:7], off
	v_mul_f64 v[0:1], v[0:1], s[0:1]
	v_mul_f64 v[2:3], v[2:3], s[0:1]
	v_mad_u64_u32 v[4:5], s[0:1], s4, v155, v[8:9]
	v_add_u32_e32 v5, s5, v5
	global_store_dwordx4 v[4:5], v[0:3], off
.LBB0_2:
	s_endpgm
	.section	.rodata,"a",@progbits
	.p2align	6, 0x0
	.amdhsa_kernel bluestein_single_back_len2500_dim1_dp_op_CI_CI
		.amdhsa_group_segment_fixed_size 40000
		.amdhsa_private_segment_fixed_size 0
		.amdhsa_kernarg_size 104
		.amdhsa_user_sgpr_count 2
		.amdhsa_user_sgpr_dispatch_ptr 0
		.amdhsa_user_sgpr_queue_ptr 0
		.amdhsa_user_sgpr_kernarg_segment_ptr 1
		.amdhsa_user_sgpr_dispatch_id 0
		.amdhsa_user_sgpr_kernarg_preload_length 0
		.amdhsa_user_sgpr_kernarg_preload_offset 0
		.amdhsa_user_sgpr_private_segment_size 0
		.amdhsa_uses_dynamic_stack 0
		.amdhsa_enable_private_segment 0
		.amdhsa_system_sgpr_workgroup_id_x 1
		.amdhsa_system_sgpr_workgroup_id_y 0
		.amdhsa_system_sgpr_workgroup_id_z 0
		.amdhsa_system_sgpr_workgroup_info 0
		.amdhsa_system_vgpr_workitem_id 0
		.amdhsa_next_free_vgpr 244
		.amdhsa_next_free_sgpr 25
		.amdhsa_accum_offset 244
		.amdhsa_reserve_vcc 1
		.amdhsa_float_round_mode_32 0
		.amdhsa_float_round_mode_16_64 0
		.amdhsa_float_denorm_mode_32 3
		.amdhsa_float_denorm_mode_16_64 3
		.amdhsa_dx10_clamp 1
		.amdhsa_ieee_mode 1
		.amdhsa_fp16_overflow 0
		.amdhsa_tg_split 0
		.amdhsa_exception_fp_ieee_invalid_op 0
		.amdhsa_exception_fp_denorm_src 0
		.amdhsa_exception_fp_ieee_div_zero 0
		.amdhsa_exception_fp_ieee_overflow 0
		.amdhsa_exception_fp_ieee_underflow 0
		.amdhsa_exception_fp_ieee_inexact 0
		.amdhsa_exception_int_div_zero 0
	.end_amdhsa_kernel
	.text
.Lfunc_end0:
	.size	bluestein_single_back_len2500_dim1_dp_op_CI_CI, .Lfunc_end0-bluestein_single_back_len2500_dim1_dp_op_CI_CI
                                        ; -- End function
	.section	.AMDGPU.csdata,"",@progbits
; Kernel info:
; codeLenInByte = 12996
; NumSgprs: 31
; NumVgprs: 244
; NumAgprs: 0
; TotalNumVgprs: 244
; ScratchSize: 0
; MemoryBound: 0
; FloatMode: 240
; IeeeMode: 1
; LDSByteSize: 40000 bytes/workgroup (compile time only)
; SGPRBlocks: 3
; VGPRBlocks: 30
; NumSGPRsForWavesPerEU: 31
; NumVGPRsForWavesPerEU: 244
; AccumOffset: 244
; Occupancy: 2
; WaveLimiterHint : 1
; COMPUTE_PGM_RSRC2:SCRATCH_EN: 0
; COMPUTE_PGM_RSRC2:USER_SGPR: 2
; COMPUTE_PGM_RSRC2:TRAP_HANDLER: 0
; COMPUTE_PGM_RSRC2:TGID_X_EN: 1
; COMPUTE_PGM_RSRC2:TGID_Y_EN: 0
; COMPUTE_PGM_RSRC2:TGID_Z_EN: 0
; COMPUTE_PGM_RSRC2:TIDIG_COMP_CNT: 0
; COMPUTE_PGM_RSRC3_GFX90A:ACCUM_OFFSET: 60
; COMPUTE_PGM_RSRC3_GFX90A:TG_SPLIT: 0
	.text
	.p2alignl 6, 3212836864
	.fill 256, 4, 3212836864
	.type	__hip_cuid_a1a31e1e255323f2,@object ; @__hip_cuid_a1a31e1e255323f2
	.section	.bss,"aw",@nobits
	.globl	__hip_cuid_a1a31e1e255323f2
__hip_cuid_a1a31e1e255323f2:
	.byte	0                               ; 0x0
	.size	__hip_cuid_a1a31e1e255323f2, 1

	.ident	"AMD clang version 19.0.0git (https://github.com/RadeonOpenCompute/llvm-project roc-6.4.0 25133 c7fe45cf4b819c5991fe208aaa96edf142730f1d)"
	.section	".note.GNU-stack","",@progbits
	.addrsig
	.addrsig_sym __hip_cuid_a1a31e1e255323f2
	.amdgpu_metadata
---
amdhsa.kernels:
  - .agpr_count:     0
    .args:
      - .actual_access:  read_only
        .address_space:  global
        .offset:         0
        .size:           8
        .value_kind:     global_buffer
      - .actual_access:  read_only
        .address_space:  global
        .offset:         8
        .size:           8
        .value_kind:     global_buffer
      - .actual_access:  read_only
        .address_space:  global
        .offset:         16
        .size:           8
        .value_kind:     global_buffer
      - .actual_access:  read_only
        .address_space:  global
        .offset:         24
        .size:           8
        .value_kind:     global_buffer
      - .actual_access:  read_only
        .address_space:  global
        .offset:         32
        .size:           8
        .value_kind:     global_buffer
      - .offset:         40
        .size:           8
        .value_kind:     by_value
      - .address_space:  global
        .offset:         48
        .size:           8
        .value_kind:     global_buffer
      - .address_space:  global
        .offset:         56
        .size:           8
        .value_kind:     global_buffer
      - .address_space:  global
        .offset:         64
        .size:           8
        .value_kind:     global_buffer
      - .address_space:  global
        .offset:         72
        .size:           8
        .value_kind:     global_buffer
      - .offset:         80
        .size:           4
        .value_kind:     by_value
      - .address_space:  global
        .offset:         88
        .size:           8
        .value_kind:     global_buffer
      - .address_space:  global
        .offset:         96
        .size:           8
        .value_kind:     global_buffer
    .group_segment_fixed_size: 40000
    .kernarg_segment_align: 8
    .kernarg_segment_size: 104
    .language:       OpenCL C
    .language_version:
      - 2
      - 0
    .max_flat_workgroup_size: 250
    .name:           bluestein_single_back_len2500_dim1_dp_op_CI_CI
    .private_segment_fixed_size: 0
    .sgpr_count:     31
    .sgpr_spill_count: 0
    .symbol:         bluestein_single_back_len2500_dim1_dp_op_CI_CI.kd
    .uniform_work_group_size: 1
    .uses_dynamic_stack: false
    .vgpr_count:     244
    .vgpr_spill_count: 0
    .wavefront_size: 64
amdhsa.target:   amdgcn-amd-amdhsa--gfx950
amdhsa.version:
  - 1
  - 2
...

	.end_amdgpu_metadata
